;; amdgpu-corpus repo=ROCm/rocFFT kind=compiled arch=gfx950 opt=O3
	.text
	.amdgcn_target "amdgcn-amd-amdhsa--gfx950"
	.amdhsa_code_object_version 6
	.protected	fft_rtc_fwd_len864_factors_3_6_16_3_wgs_54_tpt_54_halfLds_dp_op_CI_CI_sbrr_dirReg ; -- Begin function fft_rtc_fwd_len864_factors_3_6_16_3_wgs_54_tpt_54_halfLds_dp_op_CI_CI_sbrr_dirReg
	.globl	fft_rtc_fwd_len864_factors_3_6_16_3_wgs_54_tpt_54_halfLds_dp_op_CI_CI_sbrr_dirReg
	.p2align	8
	.type	fft_rtc_fwd_len864_factors_3_6_16_3_wgs_54_tpt_54_halfLds_dp_op_CI_CI_sbrr_dirReg,@function
fft_rtc_fwd_len864_factors_3_6_16_3_wgs_54_tpt_54_halfLds_dp_op_CI_CI_sbrr_dirReg: ; @fft_rtc_fwd_len864_factors_3_6_16_3_wgs_54_tpt_54_halfLds_dp_op_CI_CI_sbrr_dirReg
; %bb.0:
	s_load_dwordx4 s[12:15], s[0:1], 0x18
	s_load_dwordx4 s[4:7], s[0:1], 0x0
	;; [unrolled: 1-line block ×3, first 2 shown]
	v_mul_u32_u24_e32 v1, 0x4be, v0
	v_add_u32_sdwa v6, s2, v1 dst_sel:DWORD dst_unused:UNUSED_PAD src0_sel:DWORD src1_sel:WORD_1
	s_waitcnt lgkmcnt(0)
	s_load_dwordx2 s[18:19], s[12:13], 0x0
	s_load_dwordx2 s[16:17], s[14:15], 0x0
	v_mov_b32_e32 v2, 0
	v_cmp_lt_u64_e64 s[2:3], s[6:7], 2
	v_mov_b32_e32 v7, v2
	s_and_b64 vcc, exec, s[2:3]
	v_mov_b64_e32 v[4:5], 0
	s_cbranch_vccnz .LBB0_8
; %bb.1:
	s_load_dwordx2 s[2:3], s[0:1], 0x10
	s_add_u32 s20, s14, 8
	s_addc_u32 s21, s15, 0
	s_add_u32 s22, s12, 8
	s_addc_u32 s23, s13, 0
	s_waitcnt lgkmcnt(0)
	s_add_u32 s24, s2, 8
	v_mov_b64_e32 v[4:5], 0
	s_addc_u32 s25, s3, 0
	s_mov_b64 s[26:27], 1
	v_mov_b64_e32 v[96:97], v[4:5]
.LBB0_2:                                ; =>This Inner Loop Header: Depth=1
	s_load_dwordx2 s[28:29], s[24:25], 0x0
                                        ; implicit-def: $vgpr98_vgpr99
	s_waitcnt lgkmcnt(0)
	v_or_b32_e32 v3, s29, v7
	v_cmp_ne_u64_e32 vcc, 0, v[2:3]
	s_and_saveexec_b64 s[2:3], vcc
	s_xor_b64 s[30:31], exec, s[2:3]
	s_cbranch_execz .LBB0_4
; %bb.3:                                ;   in Loop: Header=BB0_2 Depth=1
	v_cvt_f32_u32_e32 v1, s28
	v_cvt_f32_u32_e32 v3, s29
	s_sub_u32 s2, 0, s28
	s_subb_u32 s3, 0, s29
	v_fmac_f32_e32 v1, 0x4f800000, v3
	v_rcp_f32_e32 v1, v1
	s_nop 0
	v_mul_f32_e32 v1, 0x5f7ffffc, v1
	v_mul_f32_e32 v3, 0x2f800000, v1
	v_trunc_f32_e32 v3, v3
	v_fmac_f32_e32 v1, 0xcf800000, v3
	v_cvt_u32_f32_e32 v3, v3
	v_cvt_u32_f32_e32 v1, v1
	v_mul_lo_u32 v8, s2, v3
	v_mul_hi_u32 v10, s2, v1
	v_mul_lo_u32 v9, s3, v1
	v_add_u32_e32 v10, v10, v8
	v_mul_lo_u32 v12, s2, v1
	v_add_u32_e32 v13, v10, v9
	v_mul_hi_u32 v8, v1, v12
	v_mul_hi_u32 v11, v1, v13
	v_mul_lo_u32 v10, v1, v13
	v_mov_b32_e32 v9, v2
	v_lshl_add_u64 v[8:9], v[8:9], 0, v[10:11]
	v_mul_hi_u32 v11, v3, v12
	v_mul_lo_u32 v12, v3, v12
	v_add_co_u32_e32 v8, vcc, v8, v12
	v_mul_hi_u32 v10, v3, v13
	s_nop 0
	v_addc_co_u32_e32 v8, vcc, v9, v11, vcc
	v_mov_b32_e32 v9, v2
	s_nop 0
	v_addc_co_u32_e32 v11, vcc, 0, v10, vcc
	v_mul_lo_u32 v10, v3, v13
	v_lshl_add_u64 v[8:9], v[8:9], 0, v[10:11]
	v_add_co_u32_e32 v1, vcc, v1, v8
	v_mul_lo_u32 v10, s2, v1
	s_nop 0
	v_addc_co_u32_e32 v3, vcc, v3, v9, vcc
	v_mul_lo_u32 v8, s2, v3
	v_mul_hi_u32 v9, s2, v1
	v_add_u32_e32 v8, v9, v8
	v_mul_lo_u32 v9, s3, v1
	v_add_u32_e32 v12, v8, v9
	v_mul_hi_u32 v14, v3, v10
	v_mul_lo_u32 v15, v3, v10
	v_mul_hi_u32 v9, v1, v12
	v_mul_lo_u32 v8, v1, v12
	v_mul_hi_u32 v10, v1, v10
	v_mov_b32_e32 v11, v2
	v_lshl_add_u64 v[8:9], v[10:11], 0, v[8:9]
	v_add_co_u32_e32 v8, vcc, v8, v15
	v_mul_hi_u32 v13, v3, v12
	s_nop 0
	v_addc_co_u32_e32 v8, vcc, v9, v14, vcc
	v_mul_lo_u32 v10, v3, v12
	s_nop 0
	v_addc_co_u32_e32 v11, vcc, 0, v13, vcc
	v_mov_b32_e32 v9, v2
	v_lshl_add_u64 v[8:9], v[8:9], 0, v[10:11]
	v_add_co_u32_e32 v1, vcc, v1, v8
	v_mul_hi_u32 v10, v6, v1
	s_nop 0
	v_addc_co_u32_e32 v3, vcc, v3, v9, vcc
	v_mad_u64_u32 v[8:9], s[2:3], v6, v3, 0
	v_mov_b32_e32 v11, v2
	v_lshl_add_u64 v[8:9], v[10:11], 0, v[8:9]
	v_mad_u64_u32 v[12:13], s[2:3], v7, v1, 0
	v_add_co_u32_e32 v1, vcc, v8, v12
	v_mad_u64_u32 v[10:11], s[2:3], v7, v3, 0
	s_nop 0
	v_addc_co_u32_e32 v8, vcc, v9, v13, vcc
	v_mov_b32_e32 v9, v2
	s_nop 0
	v_addc_co_u32_e32 v11, vcc, 0, v11, vcc
	v_lshl_add_u64 v[8:9], v[8:9], 0, v[10:11]
	v_mul_lo_u32 v1, s29, v8
	v_mul_lo_u32 v3, s28, v9
	v_mad_u64_u32 v[10:11], s[2:3], s28, v8, 0
	v_add3_u32 v1, v11, v3, v1
	v_sub_u32_e32 v3, v7, v1
	v_mov_b32_e32 v11, s29
	v_sub_co_u32_e32 v14, vcc, v6, v10
	v_lshl_add_u64 v[12:13], v[8:9], 0, 1
	s_nop 0
	v_subb_co_u32_e64 v3, s[2:3], v3, v11, vcc
	v_subrev_co_u32_e64 v10, s[2:3], s28, v14
	v_subb_co_u32_e32 v1, vcc, v7, v1, vcc
	s_nop 0
	v_subbrev_co_u32_e64 v3, s[2:3], 0, v3, s[2:3]
	v_cmp_le_u32_e64 s[2:3], s29, v3
	v_cmp_le_u32_e32 vcc, s29, v1
	s_nop 0
	v_cndmask_b32_e64 v11, 0, -1, s[2:3]
	v_cmp_le_u32_e64 s[2:3], s28, v10
	s_nop 1
	v_cndmask_b32_e64 v10, 0, -1, s[2:3]
	v_cmp_eq_u32_e64 s[2:3], s29, v3
	s_nop 1
	v_cndmask_b32_e64 v3, v11, v10, s[2:3]
	v_lshl_add_u64 v[10:11], v[8:9], 0, 2
	v_cmp_ne_u32_e64 s[2:3], 0, v3
	s_nop 1
	v_cndmask_b32_e64 v3, v13, v11, s[2:3]
	v_cndmask_b32_e64 v11, 0, -1, vcc
	v_cmp_le_u32_e32 vcc, s28, v14
	s_nop 1
	v_cndmask_b32_e64 v13, 0, -1, vcc
	v_cmp_eq_u32_e32 vcc, s29, v1
	s_nop 1
	v_cndmask_b32_e32 v1, v11, v13, vcc
	v_cmp_ne_u32_e32 vcc, 0, v1
	v_cndmask_b32_e64 v1, v12, v10, s[2:3]
	s_nop 0
	v_cndmask_b32_e32 v99, v9, v3, vcc
	v_cndmask_b32_e32 v98, v8, v1, vcc
.LBB0_4:                                ;   in Loop: Header=BB0_2 Depth=1
	s_andn2_saveexec_b64 s[2:3], s[30:31]
	s_cbranch_execz .LBB0_6
; %bb.5:                                ;   in Loop: Header=BB0_2 Depth=1
	v_cvt_f32_u32_e32 v1, s28
	s_sub_i32 s30, 0, s28
	v_mov_b32_e32 v99, v2
	v_rcp_iflag_f32_e32 v1, v1
	s_nop 0
	v_mul_f32_e32 v1, 0x4f7ffffe, v1
	v_cvt_u32_f32_e32 v1, v1
	v_mul_lo_u32 v3, s30, v1
	v_mul_hi_u32 v3, v1, v3
	v_add_u32_e32 v1, v1, v3
	v_mul_hi_u32 v1, v6, v1
	v_mul_lo_u32 v3, v1, s28
	v_sub_u32_e32 v3, v6, v3
	v_add_u32_e32 v8, 1, v1
	v_subrev_u32_e32 v9, s28, v3
	v_cmp_le_u32_e32 vcc, s28, v3
	s_nop 1
	v_cndmask_b32_e32 v3, v3, v9, vcc
	v_cndmask_b32_e32 v1, v1, v8, vcc
	v_add_u32_e32 v8, 1, v1
	v_cmp_le_u32_e32 vcc, s28, v3
	s_nop 1
	v_cndmask_b32_e32 v98, v1, v8, vcc
.LBB0_6:                                ;   in Loop: Header=BB0_2 Depth=1
	s_or_b64 exec, exec, s[2:3]
	v_mad_u64_u32 v[8:9], s[2:3], v98, s28, 0
	s_load_dwordx2 s[2:3], s[22:23], 0x0
	v_mul_lo_u32 v1, v99, s28
	v_mul_lo_u32 v3, v98, s29
	s_load_dwordx2 s[28:29], s[20:21], 0x0
	s_add_u32 s26, s26, 1
	v_add3_u32 v1, v9, v3, v1
	v_sub_co_u32_e32 v3, vcc, v6, v8
	s_addc_u32 s27, s27, 0
	s_nop 0
	v_subb_co_u32_e32 v1, vcc, v7, v1, vcc
	s_add_u32 s20, s20, 8
	s_waitcnt lgkmcnt(0)
	v_mul_lo_u32 v6, s2, v1
	v_mul_lo_u32 v7, s3, v3
	v_mad_u64_u32 v[4:5], s[2:3], s2, v3, v[4:5]
	s_addc_u32 s21, s21, 0
	v_add3_u32 v5, v7, v5, v6
	v_mul_lo_u32 v1, s28, v1
	v_mul_lo_u32 v6, s29, v3
	v_mad_u64_u32 v[96:97], s[2:3], s28, v3, v[96:97]
	s_add_u32 s22, s22, 8
	v_add3_u32 v97, v6, v97, v1
	s_addc_u32 s23, s23, 0
	v_mov_b64_e32 v[6:7], s[6:7]
	s_add_u32 s24, s24, 8
	v_cmp_ge_u64_e32 vcc, s[26:27], v[6:7]
	s_addc_u32 s25, s25, 0
	s_cbranch_vccnz .LBB0_9
; %bb.7:                                ;   in Loop: Header=BB0_2 Depth=1
	v_mov_b64_e32 v[6:7], v[98:99]
	s_branch .LBB0_2
.LBB0_8:
	v_mov_b64_e32 v[96:97], v[4:5]
	v_mov_b64_e32 v[98:99], v[6:7]
.LBB0_9:
	s_load_dwordx2 s[0:1], s[0:1], 0x28
	s_lshl_b64 s[20:21], s[6:7], 3
	s_add_u32 s6, s14, s20
	s_addc_u32 s7, s15, s21
                                        ; implicit-def: $vgpr106
                                        ; implicit-def: $vgpr107
                                        ; implicit-def: $vgpr108
                                        ; implicit-def: $vgpr109
                                        ; implicit-def: $vgpr110
	s_waitcnt lgkmcnt(0)
	v_cmp_gt_u64_e32 vcc, s[0:1], v[98:99]
	v_cmp_le_u64_e64 s[0:1], s[0:1], v[98:99]
	s_and_saveexec_b64 s[2:3], s[0:1]
	s_xor_b64 s[0:1], exec, s[2:3]
; %bb.10:
	s_mov_b32 s2, 0x4bda130
	v_mul_hi_u32 v1, v0, s2
	v_mul_u32_u24_e32 v1, 54, v1
	v_sub_u32_e32 v106, v0, v1
	v_add_u32_e32 v107, 54, v106
	v_add_u32_e32 v108, 0x6c, v106
	v_add_u32_e32 v109, 0xa2, v106
	v_add_u32_e32 v110, 0xd8, v106
                                        ; implicit-def: $vgpr0
                                        ; implicit-def: $vgpr4_vgpr5
; %bb.11:
	s_or_saveexec_b64 s[2:3], s[0:1]
	s_load_dwordx2 s[6:7], s[6:7], 0x0
                                        ; implicit-def: $vgpr18_vgpr19
                                        ; implicit-def: $vgpr30_vgpr31
                                        ; implicit-def: $vgpr14_vgpr15
                                        ; implicit-def: $vgpr34_vgpr35
                                        ; implicit-def: $vgpr38_vgpr39
                                        ; implicit-def: $vgpr46_vgpr47
                                        ; implicit-def: $vgpr78_vgpr79
                                        ; implicit-def: $vgpr82_vgpr83
                                        ; implicit-def: $vgpr86_vgpr87
                                        ; implicit-def: $vgpr2_vgpr3
                                        ; implicit-def: $vgpr66_vgpr67
                                        ; implicit-def: $vgpr70_vgpr71
                                        ; implicit-def: $vgpr94_vgpr95
                                        ; implicit-def: $vgpr90_vgpr91
                                        ; implicit-def: $vgpr6_vgpr7
                                        ; implicit-def: $vgpr50_vgpr51
                                        ; implicit-def: $vgpr22_vgpr23
                                        ; implicit-def: $vgpr10_vgpr11
	s_xor_b64 exec, exec, s[2:3]
	s_cbranch_execz .LBB0_15
; %bb.12:
	s_add_u32 s0, s12, s20
	s_addc_u32 s1, s13, s21
	s_load_dwordx2 s[0:1], s[0:1], 0x0
	s_mov_b32 s12, 0x4bda130
                                        ; implicit-def: $vgpr88_vgpr89
                                        ; implicit-def: $vgpr92_vgpr93
	s_waitcnt lgkmcnt(0)
	v_mul_lo_u32 v1, s1, v98
	v_mul_lo_u32 v6, s0, v99
	v_mad_u64_u32 v[2:3], s[0:1], s0, v98, 0
	v_add3_u32 v3, v3, v6, v1
	v_mul_hi_u32 v1, v0, s12
	v_mul_u32_u24_e32 v1, 54, v1
	v_sub_u32_e32 v106, v0, v1
	v_lshl_add_u64 v[2:3], v[2:3], 4, s[8:9]
	v_lshl_add_u64 v[24:25], v[4:5], 4, v[2:3]
	v_add_u32_e32 v5, 0x120, v106
	v_mad_u64_u32 v[0:1], s[0:1], s18, v106, 0
	v_mad_u64_u32 v[2:3], s[0:1], s18, v5, 0
	v_mov_b32_e32 v6, v1
	v_mov_b32_e32 v4, v3
	v_mad_u64_u32 v[6:7], s[0:1], s19, v106, v[6:7]
	v_mad_u64_u32 v[4:5], s[0:1], s19, v5, v[4:5]
	v_mov_b32_e32 v1, v6
	v_mov_b32_e32 v3, v4
	v_lshl_add_u64 v[0:1], v[0:1], 4, v[24:25]
	v_lshl_add_u64 v[2:3], v[2:3], 4, v[24:25]
	global_load_dwordx4 v[8:11], v[0:1], off
	global_load_dwordx4 v[16:19], v[2:3], off
	v_or_b32_e32 v3, 0x240, v106
	v_mad_u64_u32 v[0:1], s[0:1], s18, v3, 0
	v_mov_b32_e32 v2, v1
	v_mad_u64_u32 v[2:3], s[0:1], s19, v3, v[2:3]
	v_add_u32_e32 v107, 54, v106
	v_mov_b32_e32 v1, v2
	v_mad_u64_u32 v[2:3], s[0:1], s18, v107, 0
	v_mov_b32_e32 v4, v3
	v_mad_u64_u32 v[4:5], s[0:1], s19, v107, v[4:5]
	v_mov_b32_e32 v3, v4
	v_lshl_add_u64 v[0:1], v[0:1], 4, v[24:25]
	v_lshl_add_u64 v[2:3], v[2:3], 4, v[24:25]
	global_load_dwordx4 v[28:31], v[0:1], off
	global_load_dwordx4 v[12:15], v[2:3], off
	v_add_u32_e32 v3, 0x156, v106
	v_mad_u64_u32 v[0:1], s[0:1], s18, v3, 0
	v_mov_b32_e32 v2, v1
	v_mad_u64_u32 v[2:3], s[0:1], s19, v3, v[2:3]
	v_add_u32_e32 v5, 0x276, v106
	v_mov_b32_e32 v1, v2
	v_mad_u64_u32 v[2:3], s[0:1], s18, v5, 0
	v_mov_b32_e32 v4, v3
	v_mad_u64_u32 v[4:5], s[0:1], s19, v5, v[4:5]
	v_lshl_add_u64 v[0:1], v[0:1], 4, v[24:25]
	v_mov_b32_e32 v3, v4
	v_add_u32_e32 v108, 0x6c, v106
	v_lshl_add_u64 v[2:3], v[2:3], 4, v[24:25]
	global_load_dwordx4 v[32:35], v[0:1], off
	global_load_dwordx4 v[36:39], v[2:3], off
	v_mad_u64_u32 v[0:1], s[0:1], s18, v108, 0
	v_mov_b32_e32 v2, v1
	v_mad_u64_u32 v[2:3], s[0:1], s19, v108, v[2:3]
	v_add_u32_e32 v5, 0x18c, v106
	v_mov_b32_e32 v1, v2
	v_mad_u64_u32 v[2:3], s[0:1], s18, v5, 0
	v_mov_b32_e32 v4, v3
	v_mad_u64_u32 v[4:5], s[0:1], s19, v5, v[4:5]
	v_mov_b32_e32 v3, v4
	v_lshl_add_u64 v[0:1], v[0:1], 4, v[24:25]
	v_lshl_add_u64 v[2:3], v[2:3], 4, v[24:25]
	global_load_dwordx4 v[20:23], v[0:1], off
	global_load_dwordx4 v[44:47], v[2:3], off
	v_add_u32_e32 v3, 0x2ac, v106
	v_mad_u64_u32 v[0:1], s[0:1], s18, v3, 0
	v_mov_b32_e32 v2, v1
	v_mad_u64_u32 v[2:3], s[0:1], s19, v3, v[2:3]
	v_add_u32_e32 v109, 0xa2, v106
	v_mov_b32_e32 v1, v2
	v_mad_u64_u32 v[2:3], s[0:1], s18, v109, 0
	v_mov_b32_e32 v4, v3
	v_mad_u64_u32 v[4:5], s[0:1], s19, v109, v[4:5]
	v_add_u32_e32 v7, 0x1c2, v106
	v_mov_b32_e32 v3, v4
	;; [unrolled: 5-line block ×6, first 2 shown]
	v_mad_u64_u32 v[42:43], s[0:1], s18, v49, 0
	v_mov_b32_e32 v48, v43
	v_mad_u64_u32 v[48:49], s[0:1], s19, v49, v[48:49]
	v_lshl_add_u64 v[0:1], v[0:1], 4, v[24:25]
	v_lshl_add_u64 v[2:3], v[2:3], 4, v[24:25]
	v_mov_b32_e32 v43, v48
	v_lshl_add_u64 v[4:5], v[4:5], 4, v[24:25]
	global_load_dwordx4 v[76:79], v[0:1], off
	global_load_dwordx4 v[48:51], v[2:3], off
	v_lshl_add_u64 v[6:7], v[6:7], 4, v[24:25]
	v_lshl_add_u64 v[26:27], v[26:27], 4, v[24:25]
	;; [unrolled: 1-line block ×4, first 2 shown]
	global_load_dwordx4 v[80:83], v[4:5], off
	global_load_dwordx4 v[84:87], v[6:7], off
	;; [unrolled: 1-line block ×5, first 2 shown]
	v_cmp_gt_u32_e64 s[0:1], 18, v106
                                        ; implicit-def: $vgpr4_vgpr5
	s_and_saveexec_b64 s[8:9], s[0:1]
	s_cbranch_execz .LBB0_14
; %bb.13:
	v_add_u32_e32 v7, 0x10e, v106
	v_mad_u64_u32 v[4:5], s[0:1], s18, v7, 0
	v_mov_b32_e32 v6, v5
	v_mad_u64_u32 v[6:7], s[0:1], s19, v7, v[6:7]
	v_mov_b32_e32 v5, v6
	v_add_u32_e32 v7, 0x22e, v106
	v_lshl_add_u64 v[26:27], v[4:5], 4, v[24:25]
	v_mad_u64_u32 v[4:5], s[0:1], s18, v7, 0
	v_mov_b32_e32 v6, v5
	v_mad_u64_u32 v[6:7], s[0:1], s19, v7, v[6:7]
	v_mov_b32_e32 v5, v6
	v_lshl_add_u64 v[40:41], v[4:5], 4, v[24:25]
	global_load_dwordx4 v[4:7], v[26:27], off
	global_load_dwordx4 v[88:91], v[40:41], off
	v_add_u32_e32 v41, 0x34e, v106
	v_mad_u64_u32 v[26:27], s[0:1], s18, v41, 0
	v_mov_b32_e32 v40, v27
	v_mad_u64_u32 v[40:41], s[0:1], s19, v41, v[40:41]
	v_mov_b32_e32 v27, v40
	v_lshl_add_u64 v[24:25], v[26:27], 4, v[24:25]
	global_load_dwordx4 v[92:95], v[24:25], off
.LBB0_14:
	s_or_b64 exec, exec, s[8:9]
.LBB0_15:
	s_or_b64 exec, exec, s[2:3]
	s_waitcnt vmcnt(12)
	v_add_f64 v[26:27], v[16:17], v[28:29]
	s_mov_b32 s0, 0xe8584caa
	v_add_f64 v[24:25], v[16:17], v[8:9]
	v_fmac_f64_e32 v[8:9], -0.5, v[26:27]
	v_add_f64 v[26:27], v[18:19], -v[30:31]
	s_mov_b32 s1, 0x3febb67a
	s_mov_b32 s3, 0xbfebb67a
	;; [unrolled: 1-line block ×3, first 2 shown]
	s_waitcnt vmcnt(9)
	v_add_f64 v[42:43], v[32:33], v[36:37]
	v_fma_f64 v[40:41], s[0:1], v[26:27], v[8:9]
	v_fmac_f64_e32 v[8:9], s[2:3], v[26:27]
	v_add_f64 v[26:27], v[12:13], v[32:33]
	v_fmac_f64_e32 v[12:13], -0.5, v[42:43]
	v_add_f64 v[42:43], v[34:35], -v[38:39]
	s_waitcnt vmcnt(6)
	v_add_f64 v[54:55], v[44:45], v[76:77]
	v_fma_f64 v[52:53], s[0:1], v[42:43], v[12:13]
	v_fmac_f64_e32 v[12:13], s[2:3], v[42:43]
	v_add_f64 v[42:43], v[44:45], v[20:21]
	v_fmac_f64_e32 v[20:21], -0.5, v[54:55]
	v_add_f64 v[54:55], v[46:47], -v[78:79]
	s_waitcnt vmcnt(3)
	v_add_f64 v[58:59], v[80:81], v[84:85]
	v_add_f64 v[24:25], v[28:29], v[24:25]
	v_mad_u32_u24 v115, v106, 24, 0
	v_fma_f64 v[56:57], s[0:1], v[54:55], v[20:21]
	v_fmac_f64_e32 v[20:21], s[2:3], v[54:55]
	v_add_f64 v[54:55], v[80:81], v[48:49]
	v_fmac_f64_e32 v[48:49], -0.5, v[58:59]
	ds_write2_b64 v115, v[24:25], v[40:41] offset1:1
	v_add_f64 v[24:25], v[82:83], -v[86:87]
	v_fma_f64 v[40:41], s[0:1], v[24:25], v[48:49]
	v_fmac_f64_e32 v[48:49], s[2:3], v[24:25]
	s_waitcnt vmcnt(0)
	v_add_f64 v[24:25], v[64:65], v[68:69]
	v_add_f64 v[26:27], v[26:27], v[36:37]
	ds_write_b64 v115, v[8:9] offset:16
	v_mad_i32_i24 v113, v107, 24, 0
	v_add_f64 v[8:9], v[0:1], v[64:65]
	v_fmac_f64_e32 v[0:1], -0.5, v[24:25]
	v_add_f64 v[24:25], v[66:67], -v[70:71]
	ds_write2_b64 v113, v[26:27], v[52:53] offset1:1
	v_fma_f64 v[102:103], s[0:1], v[24:25], v[0:1]
	v_fmac_f64_e32 v[0:1], s[2:3], v[24:25]
	v_add_f64 v[24:25], v[76:77], v[42:43]
	v_add_f64 v[26:27], v[84:85], v[54:55]
	;; [unrolled: 1-line block ×3, first 2 shown]
	ds_write_b64 v113, v[12:13] offset:16
	v_mad_i32_i24 v114, v108, 24, 0
	v_add_f64 v[8:9], v[88:89], v[4:5]
	v_mad_i32_i24 v12, v109, 24, 0
	ds_write2_b64 v114, v[24:25], v[56:57] offset1:1
	ds_write_b64 v114, v[20:21] offset:16
	ds_write2_b64 v12, v[26:27], v[40:41] offset1:1
	v_add_f64 v[40:41], v[92:93], v[8:9]
	v_add_f64 v[8:9], v[92:93], v[88:89]
	v_fmac_f64_e32 v[4:5], -0.5, v[8:9]
	v_add_f64 v[8:9], v[90:91], -v[94:95]
	v_fma_f64 v[42:43], s[0:1], v[8:9], v[4:5]
	v_fmac_f64_e32 v[4:5], s[2:3], v[8:9]
	v_mad_i32_i24 v8, v110, 24, 0
	v_cmp_gt_u32_e64 s[0:1], 18, v106
	ds_write_b64 v12, v[48:49] offset:16
	ds_write2_b64 v8, v[100:101], v[102:103] offset1:1
	ds_write_b64 v8, v[0:1] offset:16
	s_and_saveexec_b64 s[2:3], s[0:1]
	s_cbranch_execz .LBB0_17
; %bb.16:
	v_add_u32_e32 v8, 0x1950, v115
	ds_write2_b64 v8, v[40:41], v[42:43] offset1:1
	ds_write_b64 v115, v[4:5] offset:6496
.LBB0_17:
	s_or_b64 exec, exec, s[2:3]
	v_lshlrev_b32_e32 v8, 4, v106
	v_sub_u32_e32 v112, v115, v8
	v_add_u32_e32 v8, 0x400, v112
	s_waitcnt lgkmcnt(0)
	; wave barrier
	s_waitcnt lgkmcnt(0)
	ds_read2_b64 v[72:75], v8 offset0:70 offset1:160
	v_add_u32_e32 v8, 0x800, v112
	ds_read2_b64 v[60:63], v8 offset0:86 offset1:176
	v_add_u32_e32 v8, 0xc00, v112
	v_lshlrev_b32_e32 v12, 4, v107
	ds_read2_b64 v[56:59], v8 offset0:102 offset1:192
	v_add_u32_e32 v13, 0x1000, v112
	v_sub_u32_e32 v8, v113, v12
	ds_read2_b64 v[24:27], v112 offset1:144
	ds_read2_b64 v[52:55], v13 offset0:118 offset1:208
	ds_read_b64 v[48:49], v8
	ds_read_b64 v[104:105], v112 offset:6192
	v_mul_i32_i24_e32 v9, 24, v109
	v_mul_i32_i24_e32 v8, 24, v110
	v_cmp_gt_u32_e64 s[2:3], 36, v106
	v_lshlrev_b32_e32 v116, 4, v108
	s_and_saveexec_b64 s[8:9], s[2:3]
	s_cbranch_execz .LBB0_19
; %bb.18:
	v_add_u32_e32 v1, 0x600, v112
	v_sub_u32_e32 v0, v114, v116
	ds_read2_b64 v[118:121], v1 offset0:60 offset1:204
	ds_read2_b64 v[40:43], v13 offset0:28 offset1:172
	ds_read_b64 v[100:101], v0
	ds_read_b64 v[4:5], v112 offset:6624
	s_waitcnt lgkmcnt(3)
	v_mov_b64_e32 v[102:103], v[118:119]
	v_mov_b64_e32 v[0:1], v[120:121]
.LBB0_19:
	s_or_b64 exec, exec, s[8:9]
	v_sub_u32_e32 v117, 0, v12
	v_add_f64 v[12:13], v[18:19], v[10:11]
	v_add_f64 v[18:19], v[18:19], v[30:31]
	s_mov_b32 s8, 0xe8584caa
	v_fmac_f64_e32 v[10:11], -0.5, v[18:19]
	v_add_f64 v[16:17], v[16:17], -v[28:29]
	s_mov_b32 s9, 0xbfebb67a
	s_mov_b32 s13, 0x3febb67a
	;; [unrolled: 1-line block ×3, first 2 shown]
	v_fma_f64 v[20:21], s[8:9], v[16:17], v[10:11]
	v_fmac_f64_e32 v[10:11], s[12:13], v[16:17]
	v_add_f64 v[16:17], v[14:15], v[34:35]
	v_add_f64 v[28:29], v[16:17], v[38:39]
	;; [unrolled: 1-line block ×3, first 2 shown]
	v_fmac_f64_e32 v[14:15], -0.5, v[16:17]
	v_add_f64 v[16:17], v[32:33], -v[36:37]
	v_add_f64 v[12:13], v[30:31], v[12:13]
	v_fma_f64 v[30:31], s[8:9], v[16:17], v[14:15]
	v_fmac_f64_e32 v[14:15], s[12:13], v[16:17]
	v_add_f64 v[16:17], v[46:47], v[22:23]
	v_add_f64 v[32:33], v[78:79], v[16:17]
	v_add_f64 v[16:17], v[46:47], v[78:79]
	v_fmac_f64_e32 v[22:23], -0.5, v[16:17]
	v_add_f64 v[16:17], v[44:45], -v[76:77]
	v_fma_f64 v[34:35], s[8:9], v[16:17], v[22:23]
	v_fmac_f64_e32 v[22:23], s[12:13], v[16:17]
	v_add_f64 v[16:17], v[82:83], v[50:51]
	v_add_f64 v[36:37], v[86:87], v[16:17]
	v_add_f64 v[16:17], v[82:83], v[86:87]
	v_fmac_f64_e32 v[50:51], -0.5, v[16:17]
	v_add_f64 v[16:17], v[80:81], -v[84:85]
	;; [unrolled: 7-line block ×3, first 2 shown]
	v_add_f64 v[18:19], v[94:95], v[90:91]
	v_fma_f64 v[64:65], s[8:9], v[16:17], v[2:3]
	v_fmac_f64_e32 v[2:3], s[12:13], v[16:17]
	v_add_f64 v[16:17], v[90:91], v[6:7]
	v_fmac_f64_e32 v[6:7], -0.5, v[18:19]
	v_add_f64 v[46:47], v[88:89], -v[92:93]
	v_add_f64 v[16:17], v[94:95], v[16:17]
	v_fma_f64 v[18:19], s[8:9], v[46:47], v[6:7]
	v_fmac_f64_e32 v[6:7], s[12:13], v[46:47]
	v_add_u32_e32 v111, 0x10e, v106
	v_add_u32_e32 v9, 0, v9
	;; [unrolled: 1-line block ×3, first 2 shown]
	s_waitcnt lgkmcnt(0)
	; wave barrier
	s_waitcnt lgkmcnt(0)
	ds_write2_b64 v115, v[12:13], v[20:21] offset1:1
	ds_write_b64 v115, v[10:11] offset:16
	ds_write2_b64 v113, v[28:29], v[30:31] offset1:1
	ds_write_b64 v113, v[14:15] offset:16
	;; [unrolled: 2-line block ×5, first 2 shown]
	s_and_saveexec_b64 s[8:9], s[0:1]
	s_cbranch_execz .LBB0_21
; %bb.20:
	v_mad_u32_u24 v8, v111, 24, 0
	ds_write2_b64 v8, v[16:17], v[18:19] offset1:1
	ds_write_b64 v8, v[6:7] offset:16
.LBB0_21:
	s_or_b64 exec, exec, s[8:9]
	v_add_u32_e32 v12, 0x400, v112
	s_waitcnt lgkmcnt(0)
	; wave barrier
	s_waitcnt lgkmcnt(0)
	ds_read2_b64 v[32:35], v12 offset0:70 offset1:160
	v_add_u32_e32 v12, 0x800, v112
	ds_read2_b64 v[28:31], v12 offset0:86 offset1:176
	v_add_u32_e32 v12, 0xc00, v112
	v_add_u32_e32 v36, 0x1000, v112
	;; [unrolled: 1-line block ×3, first 2 shown]
	ds_read2_b64 v[8:11], v112 offset1:144
	ds_read2_b64 v[20:23], v12 offset0:102 offset1:192
	ds_read2_b64 v[12:15], v36 offset0:118 offset1:208
	ds_read_b64 v[46:47], v113
	ds_read_b64 v[50:51], v112 offset:6192
	s_and_saveexec_b64 s[8:9], s[2:3]
	s_cbranch_execz .LBB0_23
; %bb.22:
	v_add_u32_e32 v3, 0x600, v112
	v_sub_u32_e32 v2, v114, v116
	ds_read2_b64 v[64:67], v3 offset0:60 offset1:204
	ds_read2_b64 v[16:19], v36 offset0:28 offset1:172
	ds_read_b64 v[44:45], v2
	ds_read_b64 v[6:7], v112 offset:6624
	s_waitcnt lgkmcnt(3)
	v_mov_b64_e32 v[2:3], v[66:67]
.LBB0_23:
	s_or_b64 exec, exec, s[8:9]
	s_movk_i32 s8, 0xab
	v_mul_lo_u16_sdwa v36, v106, s8 dst_sel:DWORD dst_unused:UNUSED_PAD src0_sel:BYTE_0 src1_sel:DWORD
	v_mul_lo_u16_sdwa v68, v107, s8 dst_sel:DWORD dst_unused:UNUSED_PAD src0_sel:BYTE_0 src1_sel:DWORD
	v_lshrrev_b16_e32 v162, 9, v36
	v_lshrrev_b16_e32 v164, 9, v68
	v_mul_lo_u16_e32 v36, 3, v162
	v_mul_lo_u16_e32 v68, 3, v164
	v_sub_u16_e32 v163, v106, v36
	v_mov_b32_e32 v66, 5
	v_sub_u16_e32 v165, v107, v68
	v_mul_u32_u24_sdwa v36, v163, v66 dst_sel:DWORD dst_unused:UNUSED_PAD src0_sel:BYTE_0 src1_sel:DWORD
	v_mul_u32_u24_sdwa v68, v165, v66 dst_sel:DWORD dst_unused:UNUSED_PAD src0_sel:BYTE_0 src1_sel:DWORD
	v_mul_lo_u16_sdwa v69, v108, s8 dst_sel:DWORD dst_unused:UNUSED_PAD src0_sel:BYTE_0 src1_sel:DWORD
	v_lshlrev_b32_e32 v67, 4, v36
	v_lshlrev_b32_e32 v68, 4, v68
	v_lshrrev_b16_e32 v90, 9, v69
	global_load_dwordx4 v[36:39], v67, s[4:5] offset:16
	global_load_dwordx4 v[84:87], v68, s[4:5]
	global_load_dwordx4 v[92:95], v67, s[4:5] offset:32
	global_load_dwordx4 v[114:117], v68, s[4:5] offset:16
	;; [unrolled: 1-line block ×5, first 2 shown]
	global_load_dwordx4 v[130:133], v67, s[4:5]
	global_load_dwordx4 v[134:137], v68, s[4:5] offset:48
	v_mul_lo_u16_e32 v67, 3, v90
	v_sub_u16_e32 v91, v108, v67
	v_mul_u32_u24_sdwa v66, v91, v66 dst_sel:DWORD dst_unused:UNUSED_PAD src0_sel:BYTE_0 src1_sel:DWORD
	v_lshlrev_b32_e32 v66, 4, v66
	global_load_dwordx4 v[138:141], v68, s[4:5] offset:64
	global_load_dwordx4 v[142:145], v66, s[4:5]
	global_load_dwordx4 v[146:149], v66, s[4:5] offset:16
	global_load_dwordx4 v[150:153], v66, s[4:5] offset:32
	;; [unrolled: 1-line block ×4, first 2 shown]
	s_mov_b32 s8, 0xe8584caa
	s_mov_b32 s9, 0x3febb67a
	s_mov_b32 s13, 0xbfebb67a
	s_mov_b32 s12, s8
	s_waitcnt lgkmcnt(0)
	; wave barrier
	s_waitcnt vmcnt(13) lgkmcnt(0)
	v_mul_f64 v[88:89], v[32:33], v[86:87]
	s_waitcnt vmcnt(12)
	v_mul_f64 v[76:77], v[62:63], v[94:95]
	s_waitcnt vmcnt(11)
	v_mul_f64 v[70:71], v[60:61], v[116:117]
	v_fmac_f64_e32 v[70:71], v[28:29], v[114:115]
	v_mul_f64 v[68:69], v[34:35], v[38:39]
	v_mul_f64 v[78:79], v[74:75], v[38:39]
	;; [unrolled: 1-line block ×3, first 2 shown]
	v_fma_f64 v[82:83], v[74:75], v[36:37], -v[68:69]
	v_fma_f64 v[68:69], v[72:73], v[84:85], -v[88:89]
	s_waitcnt vmcnt(6)
	v_mul_f64 v[72:73], v[52:53], v[136:137]
	v_mul_f64 v[86:87], v[30:31], v[94:95]
	;; [unrolled: 1-line block ×5, first 2 shown]
	s_waitcnt vmcnt(2)
	v_mul_f64 v[28:29], v[40:41], v[152:153]
	v_fmac_f64_e32 v[72:73], v[12:13], v[134:135]
	s_waitcnt vmcnt(0)
	v_mul_f64 v[12:13], v[6:7], v[160:161]
	v_mul_f64 v[80:81], v[58:59], v[120:121]
	;; [unrolled: 1-line block ×7, first 2 shown]
	v_fmac_f64_e32 v[76:77], v[30:31], v[92:93]
	v_fma_f64 v[30:31], v[60:61], v[114:115], -v[94:95]
	v_mul_f64 v[60:61], v[16:17], v[152:153]
	v_fma_f64 v[58:59], v[58:59], v[118:119], -v[116:117]
	v_fmac_f64_e32 v[28:29], v[16:17], v[150:151]
	v_fma_f64 v[16:17], v[4:5], v[158:159], -v[12:13]
	v_mul_f64 v[12:13], v[4:5], v[160:161]
	v_add_f64 v[4:5], v[24:25], v[82:83]
	v_fmac_f64_e32 v[78:79], v[34:35], v[36:37]
	v_fmac_f64_e32 v[38:39], v[32:33], v[84:85]
	v_mul_f64 v[84:85], v[26:27], v[132:133]
	v_fmac_f64_e32 v[80:81], v[22:23], v[118:119]
	v_fmac_f64_e32 v[66:67], v[20:21], v[122:123]
	v_fma_f64 v[20:21], v[26:27], v[130:131], -v[128:129]
	v_fma_f64 v[26:27], v[40:41], v[150:151], -v[60:61]
	v_add_f64 v[40:41], v[4:5], v[58:59]
	v_add_f64 v[4:5], v[82:83], v[58:59]
	v_fma_f64 v[62:63], v[62:63], v[92:93], -v[86:87]
	v_mul_f64 v[36:37], v[0:1], v[148:149]
	v_mul_f64 v[92:93], v[18:19], v[156:157]
	v_fmac_f64_e32 v[24:25], -0.5, v[4:5]
	v_add_f64 v[4:5], v[78:79], -v[80:81]
	v_mul_f64 v[32:33], v[104:105], v[140:141]
	v_mul_f64 v[86:87], v[2:3], v[148:149]
	v_fma_f64 v[54:55], v[54:55], v[126:127], -v[124:125]
	v_fmac_f64_e32 v[84:85], v[10:11], v[130:131]
	v_fmac_f64_e32 v[36:37], v[2:3], v[146:147]
	v_fma_f64 v[2:3], v[42:43], v[154:155], -v[92:93]
	v_mul_f64 v[10:11], v[42:43], v[156:157]
	v_fma_f64 v[42:43], s[8:9], v[4:5], v[24:25]
	v_fmac_f64_e32 v[24:25], s[12:13], v[4:5]
	v_add_f64 v[4:5], v[20:21], v[62:63]
	v_mul_f64 v[132:133], v[50:51], v[140:141]
	v_fmac_f64_e32 v[74:75], v[14:15], v[126:127]
	v_fmac_f64_e32 v[32:33], v[50:51], v[138:139]
	v_add_f64 v[50:51], v[4:5], v[54:55]
	v_add_f64 v[4:5], v[62:63], v[54:55]
	v_fmac_f64_e32 v[12:13], v[6:7], v[158:159]
	v_fmac_f64_e32 v[20:21], -0.5, v[4:5]
	v_add_f64 v[6:7], v[76:77], -v[74:75]
	v_fma_f64 v[4:5], s[8:9], v[6:7], v[20:21]
	v_fmac_f64_e32 v[20:21], s[12:13], v[6:7]
	v_add_f64 v[6:7], v[76:77], v[74:75]
	v_fma_f64 v[6:7], -0.5, v[6:7], v[84:85]
	v_add_f64 v[54:55], v[62:63], -v[54:55]
	v_fmac_f64_e32 v[10:11], v[18:19], v[154:155]
	v_fma_f64 v[18:19], s[12:13], v[54:55], v[6:7]
	v_fmac_f64_e32 v[6:7], s[8:9], v[54:55]
	v_mul_f64 v[62:63], v[20:21], -0.5
	v_mul_f64 v[136:137], v[64:65], v[144:145]
	v_fmac_f64_e32 v[62:63], s[8:9], v[6:7]
	v_mul_f64 v[34:35], v[102:103], v[144:145]
	v_fma_f64 v[14:15], v[52:53], v[134:135], -v[88:89]
	v_fma_f64 v[22:23], v[102:103], v[142:143], -v[136:137]
	v_add_f64 v[102:103], v[24:25], v[62:63]
	v_add_f64 v[116:117], v[24:25], -v[62:63]
	v_add_f64 v[24:25], v[48:49], v[30:31]
	v_fma_f64 v[52:53], v[104:105], v[138:139], -v[132:133]
	v_add_f64 v[54:55], v[40:41], v[50:51]
	v_mul_f64 v[60:61], v[18:19], s[8:9]
	v_add_f64 v[104:105], v[40:41], -v[50:51]
	v_add_f64 v[50:51], v[24:25], v[14:15]
	v_add_f64 v[24:25], v[30:31], v[14:15]
	v_fma_f64 v[56:57], v[56:57], v[122:123], -v[120:121]
	v_fmac_f64_e32 v[60:61], 0.5, v[4:5]
	v_fmac_f64_e32 v[48:49], -0.5, v[24:25]
	v_add_f64 v[24:25], v[70:71], -v[72:73]
	v_add_f64 v[88:89], v[42:43], v[60:61]
	v_add_f64 v[114:115], v[42:43], -v[60:61]
	v_fma_f64 v[60:61], s[8:9], v[24:25], v[48:49]
	v_fmac_f64_e32 v[48:49], s[12:13], v[24:25]
	v_add_f64 v[24:25], v[68:69], v[56:57]
	v_add_f64 v[62:63], v[24:25], v[52:53]
	;; [unrolled: 1-line block ×3, first 2 shown]
	v_fmac_f64_e32 v[68:69], -0.5, v[24:25]
	v_add_f64 v[40:41], v[66:67], -v[32:33]
	v_fma_f64 v[24:25], s[8:9], v[40:41], v[68:69]
	v_fmac_f64_e32 v[68:69], s[12:13], v[40:41]
	v_add_f64 v[40:41], v[66:67], v[32:33]
	v_fma_f64 v[40:41], -0.5, v[40:41], v[38:39]
	v_add_f64 v[52:53], v[56:57], -v[52:53]
	v_fma_f64 v[42:43], s[12:13], v[52:53], v[40:41]
	v_fmac_f64_e32 v[40:41], s[8:9], v[52:53]
	v_mul_f64 v[56:57], v[68:69], -0.5
	v_fma_f64 v[0:1], v[0:1], v[146:147], -v[86:87]
	v_fmac_f64_e32 v[56:57], s[8:9], v[40:41]
	v_add_f64 v[122:123], v[48:49], v[56:57]
	v_add_f64 v[128:129], v[48:49], -v[56:57]
	v_add_f64 v[48:49], v[0:1], v[2:3]
	v_add_f64 v[118:119], v[50:51], v[62:63]
	v_mul_f64 v[52:53], v[42:43], s[8:9]
	v_add_f64 v[124:125], v[50:51], -v[62:63]
	v_fma_f64 v[62:63], -0.5, v[48:49], v[100:101]
	v_add_f64 v[48:49], v[36:37], -v[10:11]
	v_fmac_f64_e32 v[34:35], v[64:65], v[142:143]
	v_fmac_f64_e32 v[52:53], 0.5, v[24:25]
	v_fma_f64 v[64:65], s[8:9], v[48:49], v[62:63]
	v_fmac_f64_e32 v[62:63], s[12:13], v[48:49]
	v_add_f64 v[48:49], v[26:27], v[16:17]
	v_add_f64 v[120:121], v[60:61], v[52:53]
	v_add_f64 v[126:127], v[60:61], -v[52:53]
	v_fma_f64 v[48:49], -0.5, v[48:49], v[22:23]
	v_add_f64 v[52:53], v[28:29], -v[12:13]
	v_fma_f64 v[50:51], s[8:9], v[52:53], v[48:49]
	v_fmac_f64_e32 v[48:49], s[12:13], v[52:53]
	v_add_f64 v[52:53], v[28:29], v[12:13]
	v_fma_f64 v[52:53], -0.5, v[52:53], v[34:35]
	v_add_f64 v[56:57], v[26:27], -v[16:17]
	v_mov_b32_e32 v94, 3
	v_fma_f64 v[60:61], s[12:13], v[56:57], v[52:53]
	v_fmac_f64_e32 v[52:53], s[8:9], v[56:57]
	v_mul_u32_u24_e32 v56, 0x90, v162
	v_lshlrev_b32_sdwa v57, v94, v163 dst_sel:DWORD dst_unused:UNUSED_PAD src0_sel:DWORD src1_sel:BYTE_0
	v_add3_u32 v92, 0, v56, v57
	v_mul_f64 v[86:87], v[60:61], s[8:9]
	ds_write2_b64 v92, v[54:55], v[88:89] offset1:3
	v_mul_f64 v[88:89], v[48:49], -0.5
	v_fmac_f64_e32 v[86:87], 0.5, v[50:51]
	v_fmac_f64_e32 v[88:89], s[8:9], v[52:53]
	v_mul_u32_u24_e32 v93, 0x90, v164
	v_lshlrev_b32_sdwa v95, v94, v165 dst_sel:DWORD dst_unused:UNUSED_PAD src0_sel:DWORD src1_sel:BYTE_0
	v_add_f64 v[54:55], v[64:65], -v[86:87]
	v_add_f64 v[56:57], v[62:63], -v[88:89]
	v_add3_u32 v93, 0, v93, v95
	ds_write2_b64 v92, v[102:103], v[104:105] offset0:6 offset1:9
	ds_write2_b64 v92, v[114:115], v[116:117] offset0:12 offset1:15
	ds_write2_b64 v93, v[118:119], v[120:121] offset1:3
	ds_write2_b64 v93, v[122:123], v[124:125] offset0:6 offset1:9
	ds_write2_b64 v93, v[126:127], v[128:129] offset0:12 offset1:15
	s_and_saveexec_b64 s[14:15], s[2:3]
	s_cbranch_execz .LBB0_25
; %bb.24:
	v_add_f64 v[100:101], v[100:101], v[0:1]
	v_add_f64 v[22:23], v[22:23], v[26:27]
	;; [unrolled: 1-line block ×6, first 2 shown]
	v_mul_u32_u24_e32 v64, 0x90, v90
	v_lshlrev_b32_sdwa v65, v94, v91 dst_sel:DWORD dst_unused:UNUSED_PAD src0_sel:DWORD src1_sel:BYTE_0
	v_add_f64 v[22:23], v[100:101], -v[16:17]
	v_add_f64 v[16:17], v[100:101], v[16:17]
	v_add3_u32 v64, 0, v64, v65
	ds_write2_b64 v64, v[16:17], v[62:63] offset1:3
	ds_write2_b64 v64, v[26:27], v[22:23] offset0:6 offset1:9
	ds_write2_b64 v64, v[54:55], v[56:57] offset0:12 offset1:15
.LBB0_25:
	s_or_b64 exec, exec, s[14:15]
	v_add_f64 v[22:23], v[78:79], v[80:81]
	v_add_f64 v[16:17], v[8:9], v[78:79]
	v_fmac_f64_e32 v[8:9], -0.5, v[22:23]
	v_add_f64 v[22:23], v[82:83], -v[58:59]
	v_mul_f64 v[6:7], v[6:7], -0.5
	v_fma_f64 v[26:27], s[12:13], v[22:23], v[8:9]
	v_fmac_f64_e32 v[8:9], s[8:9], v[22:23]
	v_add_f64 v[22:23], v[84:85], v[76:77]
	v_mul_f64 v[4:5], v[4:5], s[12:13]
	v_fmac_f64_e32 v[6:7], s[12:13], v[20:21]
	v_add_f64 v[22:23], v[22:23], v[74:75]
	v_fmac_f64_e32 v[4:5], 0.5, v[18:19]
	v_add_f64 v[74:75], v[8:9], v[6:7]
	v_add_f64 v[78:79], v[8:9], -v[6:7]
	v_add_f64 v[6:7], v[70:71], v[72:73]
	v_add_f64 v[64:65], v[26:27], v[4:5]
	v_add_f64 v[26:27], v[26:27], -v[4:5]
	v_add_f64 v[4:5], v[46:47], v[70:71]
	v_fmac_f64_e32 v[46:47], -0.5, v[6:7]
	v_add_f64 v[6:7], v[30:31], -v[14:15]
	v_fma_f64 v[8:9], s[12:13], v[6:7], v[46:47]
	v_fmac_f64_e32 v[46:47], s[8:9], v[6:7]
	v_add_f64 v[6:7], v[38:39], v[66:67]
	v_add_f64 v[4:5], v[4:5], v[72:73]
	;; [unrolled: 1-line block ×5, first 2 shown]
	v_mul_f64 v[14:15], v[24:25], s[12:13]
	v_add_f64 v[80:81], v[4:5], -v[6:7]
	v_add_f64 v[4:5], v[36:37], v[10:11]
	v_add_f64 v[62:63], v[16:17], v[22:23]
	v_add_f64 v[76:77], v[16:17], -v[22:23]
	v_fmac_f64_e32 v[14:15], 0.5, v[42:43]
	v_mul_f64 v[16:17], v[40:41], -0.5
	v_fma_f64 v[6:7], -0.5, v[4:5], v[44:45]
	v_add_f64 v[0:1], v[0:1], -v[2:3]
	v_add_f64 v[42:43], v[8:9], v[14:15]
	v_fmac_f64_e32 v[16:17], s[12:13], v[68:69]
	v_add_f64 v[82:83], v[8:9], -v[14:15]
	v_fma_f64 v[8:9], s[12:13], v[0:1], v[6:7]
	v_fmac_f64_e32 v[6:7], s[8:9], v[0:1]
	v_mul_f64 v[18:19], v[50:51], s[12:13]
	v_mul_f64 v[20:21], v[52:53], -0.5
	s_waitcnt lgkmcnt(0)
	; wave barrier
	s_waitcnt lgkmcnt(0)
	v_lshl_add_u32 v105, v108, 3, 0
	v_lshl_add_u32 v114, v109, 3, 0
	v_lshl_add_u32 v115, v110, 3, 0
	ds_read_b64 v[0:1], v112
	ds_read_b64 v[50:51], v105
	;; [unrolled: 1-line block ×4, first 2 shown]
	v_add_u32_e32 v116, 0x800, v112
	v_add_u32_e32 v118, 0x1000, v112
	;; [unrolled: 1-line block ×3, first 2 shown]
	v_add_f64 v[72:73], v[46:47], v[16:17]
	v_add_f64 v[46:47], v[46:47], -v[16:17]
	v_fmac_f64_e32 v[20:21], s[12:13], v[48:49]
	v_lshl_add_u32 v104, v106, 3, 0
	ds_read_b64 v[48:49], v113
	ds_read_b64 v[70:71], v104 offset:2160
	ds_read2_b64 v[38:41], v116 offset0:68 offset1:122
	ds_read2_b64 v[2:5], v116 offset0:176 offset1:230
	;; [unrolled: 1-line block ×5, first 2 shown]
	v_fmac_f64_e32 v[18:19], 0.5, v[60:61]
	v_add_f64 v[58:59], v[8:9], -v[18:19]
	v_add_f64 v[60:61], v[6:7], -v[20:21]
	s_waitcnt lgkmcnt(0)
	; wave barrier
	s_waitcnt lgkmcnt(0)
	ds_write2_b64 v92, v[62:63], v[64:65] offset1:3
	ds_write2_b64 v92, v[74:75], v[76:77] offset0:6 offset1:9
	ds_write2_b64 v92, v[26:27], v[78:79] offset0:12 offset1:15
	ds_write2_b64 v93, v[66:67], v[42:43] offset1:3
	ds_write2_b64 v93, v[72:73], v[80:81] offset0:6 offset1:9
	ds_write2_b64 v93, v[82:83], v[46:47] offset0:12 offset1:15
	s_and_saveexec_b64 s[8:9], s[2:3]
	s_cbranch_execz .LBB0_27
; %bb.26:
	v_add_f64 v[26:27], v[44:45], v[36:37]
	v_add_f64 v[10:11], v[26:27], v[10:11]
	;; [unrolled: 1-line block ×5, first 2 shown]
	v_add_f64 v[10:11], v[10:11], -v[12:13]
	v_mov_b32_e32 v13, 3
	v_mul_u32_u24_e32 v12, 0x90, v90
	v_lshlrev_b32_sdwa v13, v13, v91 dst_sel:DWORD dst_unused:UNUSED_PAD src0_sel:DWORD src1_sel:BYTE_0
	v_add_f64 v[8:9], v[8:9], v[18:19]
	v_add3_u32 v12, 0, v12, v13
	v_add_f64 v[6:7], v[6:7], v[20:21]
	ds_write2_b64 v12, v[26:27], v[8:9] offset1:3
	ds_write2_b64 v12, v[6:7], v[10:11] offset0:6 offset1:9
	ds_write2_b64 v12, v[58:59], v[60:61] offset0:12 offset1:15
.LBB0_27:
	s_or_b64 exec, exec, s[8:9]
	v_mov_b32_e32 v10, 57
	v_mul_lo_u16_sdwa v10, v106, v10 dst_sel:DWORD dst_unused:UNUSED_PAD src0_sel:BYTE_0 src1_sel:DWORD
	v_lshrrev_b16_e32 v119, 10, v10
	v_mul_lo_u16_e32 v10, 18, v119
	v_sub_u16_e32 v120, v106, v10
	v_mov_b32_e32 v10, 15
	v_mul_u32_u24_sdwa v10, v120, v10 dst_sel:DWORD dst_unused:UNUSED_PAD src0_sel:BYTE_0 src1_sel:DWORD
	v_lshlrev_b32_e32 v100, 4, v10
	s_waitcnt lgkmcnt(0)
	; wave barrier
	s_waitcnt lgkmcnt(0)
	ds_read_b64 v[42:43], v112
	ds_read_b64 v[44:45], v113
	ds_read_b64 v[66:67], v105
	ds_read_b64 v[84:85], v114
	ds_read_b64 v[86:87], v115
	ds_read_b64 v[88:89], v104 offset:2160
	ds_read2_b64 v[76:79], v116 offset0:68 offset1:122
	ds_read2_b64 v[6:9], v116 offset0:176 offset1:230
	;; [unrolled: 1-line block ×5, first 2 shown]
	global_load_dwordx4 v[10:13], v100, s[4:5] offset:288
	global_load_dwordx4 v[72:75], v100, s[4:5] offset:272
	;; [unrolled: 1-line block ×4, first 2 shown]
	s_mov_b32 s14, 0x667f3bcd
	s_mov_b32 s15, 0x3fe6a09e
	;; [unrolled: 1-line block ×10, first 2 shown]
	v_mul_u32_u24_e32 v119, 0x120, v119
	v_or_b32_sdwa v119, v119, v120 dst_sel:DWORD dst_unused:UNUSED_PAD src0_sel:DWORD src1_sel:BYTE_0
	v_lshl_add_u32 v119, v119, 3, 0
	v_add_u32_e32 v120, 0x400, v119
	v_add_u32_e32 v121, 0xc00, v112
	s_waitcnt vmcnt(0) lgkmcnt(9)
	v_mul_f64 v[46:47], v[44:45], v[64:65]
	v_fma_f64 v[46:47], v[48:49], v[62:63], -v[46:47]
	v_mul_f64 v[48:49], v[48:49], v[64:65]
	v_fmac_f64_e32 v[48:49], v[44:45], v[62:63]
	s_waitcnt lgkmcnt(8)
	v_mul_f64 v[44:45], v[66:67], v[82:83]
	v_fma_f64 v[62:63], v[50:51], v[80:81], -v[44:45]
	s_waitcnt lgkmcnt(7)
	v_mul_f64 v[44:45], v[84:85], v[74:75]
	v_mul_f64 v[64:65], v[50:51], v[82:83]
	v_fma_f64 v[50:51], v[52:53], v[72:73], -v[44:45]
	s_waitcnt lgkmcnt(6)
	v_mul_f64 v[44:45], v[86:87], v[12:13]
	v_fmac_f64_e32 v[64:65], v[66:67], v[80:81]
	v_mul_f64 v[52:53], v[52:53], v[74:75]
	v_fma_f64 v[66:67], v[68:69], v[10:11], -v[44:45]
	v_mul_f64 v[44:45], v[68:69], v[12:13]
	v_fmac_f64_e32 v[52:53], v[84:85], v[72:73]
	v_fmac_f64_e32 v[44:45], v[86:87], v[10:11]
	global_load_dwordx4 v[10:13], v100, s[4:5] offset:352
	global_load_dwordx4 v[80:83], v100, s[4:5] offset:336
	;; [unrolled: 1-line block ×4, first 2 shown]
	s_waitcnt vmcnt(0) lgkmcnt(5)
	v_mul_f64 v[68:69], v[88:89], v[74:75]
	v_fma_f64 v[68:69], v[70:71], v[72:73], -v[68:69]
	v_mul_f64 v[70:71], v[70:71], v[74:75]
	v_fmac_f64_e32 v[70:71], v[88:89], v[72:73]
	s_waitcnt lgkmcnt(4)
	v_mul_f64 v[72:73], v[76:77], v[86:87]
	v_fma_f64 v[72:73], v[38:39], v[84:85], -v[72:73]
	v_mul_f64 v[74:75], v[38:39], v[86:87]
	v_mul_f64 v[38:39], v[78:79], v[82:83]
	v_fma_f64 v[38:39], v[40:41], v[80:81], -v[38:39]
	v_mul_f64 v[40:41], v[40:41], v[82:83]
	v_fmac_f64_e32 v[74:75], v[76:77], v[84:85]
	v_fmac_f64_e32 v[40:41], v[78:79], v[80:81]
	global_load_dwordx4 v[80:83], v100, s[4:5] offset:416
	global_load_dwordx4 v[84:87], v100, s[4:5] offset:400
	;; [unrolled: 1-line block ×4, first 2 shown]
	s_waitcnt lgkmcnt(3)
	v_mul_f64 v[76:77], v[6:7], v[12:13]
	v_fma_f64 v[76:77], v[2:3], v[10:11], -v[76:77]
	s_waitcnt vmcnt(0)
	v_mul_f64 v[78:79], v[8:9], v[94:95]
	v_fma_f64 v[78:79], v[4:5], v[92:93], -v[78:79]
	v_mul_f64 v[4:5], v[4:5], v[94:95]
	v_fmac_f64_e32 v[4:5], v[8:9], v[92:93]
	s_waitcnt lgkmcnt(2)
	v_mul_f64 v[8:9], v[34:35], v[90:91]
	v_fma_f64 v[92:93], v[30:31], v[88:89], -v[8:9]
	v_mul_f64 v[8:9], v[36:37], v[86:87]
	v_mul_f64 v[90:91], v[30:31], v[90:91]
	v_fma_f64 v[8:9], v[32:33], v[84:85], -v[8:9]
	v_mul_f64 v[30:31], v[32:33], v[86:87]
	s_waitcnt lgkmcnt(1)
	v_mul_f64 v[32:33], v[26:27], v[82:83]
	v_fmac_f64_e32 v[30:31], v[36:37], v[84:85]
	v_fma_f64 v[36:37], v[22:23], v[80:81], -v[32:33]
	v_mul_f64 v[22:23], v[22:23], v[82:83]
	v_fmac_f64_e32 v[90:91], v[34:35], v[88:89]
	v_fmac_f64_e32 v[22:23], v[26:27], v[80:81]
	global_load_dwordx4 v[32:35], v100, s[4:5] offset:464
	global_load_dwordx4 v[80:83], v100, s[4:5] offset:448
	global_load_dwordx4 v[84:87], v100, s[4:5] offset:432
	v_add_f64 v[30:31], v[52:53], -v[30:31]
	v_fma_f64 v[52:53], v[52:53], 2.0, -v[30:31]
	s_waitcnt lgkmcnt(0)
	; wave barrier
	s_waitcnt vmcnt(0) lgkmcnt(0)
	v_mul_f64 v[26:27], v[28:29], v[86:87]
	v_fma_f64 v[26:27], v[24:25], v[84:85], -v[26:27]
	v_mul_f64 v[24:25], v[24:25], v[86:87]
	v_fmac_f64_e32 v[24:25], v[28:29], v[84:85]
	v_mul_f64 v[28:29], v[18:19], v[82:83]
	v_fma_f64 v[28:29], v[14:15], v[80:81], -v[28:29]
	v_mul_f64 v[14:15], v[14:15], v[82:83]
	v_fmac_f64_e32 v[14:15], v[18:19], v[80:81]
	v_mul_f64 v[18:19], v[20:21], v[34:35]
	v_fma_f64 v[18:19], v[16:17], v[32:33], -v[18:19]
	v_mul_f64 v[16:17], v[16:17], v[34:35]
	v_add_f64 v[34:35], v[66:67], -v[36:37]
	v_fmac_f64_e32 v[16:17], v[20:21], v[32:33]
	v_add_f64 v[36:37], v[44:45], -v[22:23]
	v_fma_f64 v[22:23], v[66:67], 2.0, -v[34:35]
	v_add_f64 v[32:33], v[62:63], -v[92:93]
	v_add_f64 v[66:67], v[64:65], -v[90:91]
	;; [unrolled: 1-line block ×5, first 2 shown]
	v_fma_f64 v[76:77], v[62:63], 2.0, -v[32:33]
	v_fma_f64 v[62:63], v[64:65], 2.0, -v[66:67]
	;; [unrolled: 1-line block ×4, first 2 shown]
	v_add_f64 v[74:75], v[46:47], -v[78:79]
	v_add_f64 v[78:79], v[48:49], -v[4:5]
	;; [unrolled: 1-line block ×7, first 2 shown]
	v_fma_f64 v[46:47], v[46:47], 2.0, -v[74:75]
	v_fma_f64 v[48:49], v[48:49], 2.0, -v[78:79]
	;; [unrolled: 1-line block ×8, first 2 shown]
	v_add_f64 v[4:5], v[76:77], -v[64:65]
	v_add_f64 v[68:69], v[46:47], -v[68:69]
	v_add_f64 v[70:71], v[48:49], -v[70:71]
	v_add_f64 v[24:25], v[74:75], -v[24:25]
	v_add_f64 v[26:27], v[78:79], v[26:27]
	v_add_f64 v[88:89], v[50:51], -v[82:83]
	v_add_f64 v[90:91], v[52:53], -v[40:41]
	;; [unrolled: 1-line block ×3, first 2 shown]
	v_add_f64 v[18:19], v[30:31], v[18:19]
	v_add_f64 v[22:23], v[0:1], -v[22:23]
	v_add_f64 v[84:85], v[20:21], -v[36:37]
	v_add_f64 v[38:39], v[62:63], -v[72:73]
	v_fma_f64 v[64:65], v[76:77], 2.0, -v[4:5]
	v_add_f64 v[14:15], v[32:33], -v[14:15]
	v_fma_f64 v[72:73], v[46:47], 2.0, -v[68:69]
	v_fma_f64 v[8:9], v[48:49], 2.0, -v[70:71]
	;; [unrolled: 1-line block ×10, first 2 shown]
	v_add_f64 v[28:29], v[66:67], v[28:29]
	v_fma_f64 v[32:33], v[32:33], 2.0, -v[14:15]
	v_mul_f64 v[78:79], v[14:15], s[14:15]
	v_fma_f64 v[14:15], s[14:15], v[14:15], v[84:85]
	v_add_f64 v[46:47], v[72:73], -v[40:41]
	v_add_f64 v[82:83], v[8:9], -v[48:49]
	v_fma_f64 v[40:41], s[18:19], v[52:53], v[76:77]
	v_fma_f64 v[48:49], s[18:19], v[30:31], v[86:87]
	v_fma_f64 v[66:67], v[66:67], 2.0, -v[28:29]
	v_add_f64 v[64:65], v[0:1], -v[64:65]
	v_mul_f64 v[50:51], v[32:33], s[14:15]
	v_fma_f64 v[32:33], s[18:19], v[32:33], v[20:21]
	v_fmac_f64_e32 v[14:15], s[18:19], v[28:29]
	v_fmac_f64_e32 v[40:41], s[18:19], v[30:31]
	;; [unrolled: 1-line block ×3, first 2 shown]
	v_add_f64 v[30:31], v[68:69], -v[90:91]
	v_add_f64 v[122:123], v[70:71], v[88:89]
	v_fma_f64 v[52:53], s[14:15], v[16:17], v[24:25]
	v_fma_f64 v[0:1], v[0:1], 2.0, -v[64:65]
	v_mul_f64 v[74:75], v[66:67], s[14:15]
	v_fmac_f64_e32 v[32:33], s[18:19], v[66:67]
	v_add_f64 v[66:67], v[22:23], -v[38:39]
	v_mul_f64 v[80:81], v[28:29], s[14:15]
	v_fma_f64 v[28:29], v[84:85], 2.0, -v[14:15]
	v_fma_f64 v[72:73], v[72:73], 2.0, -v[46:47]
	v_fma_f64 v[84:85], v[76:77], 2.0, -v[40:41]
	v_fma_f64 v[68:69], v[68:69], 2.0, -v[30:31]
	v_fma_f64 v[70:71], v[70:71], 2.0, -v[122:123]
	v_fma_f64 v[76:77], s[14:15], v[18:19], v[26:27]
	v_fmac_f64_e32 v[52:53], s[18:19], v[18:19]
	v_fma_f64 v[20:21], v[20:21], 2.0, -v[32:33]
	v_fma_f64 v[22:23], v[22:23], 2.0, -v[66:67]
	v_fmac_f64_e32 v[76:77], s[14:15], v[16:17]
	v_fma_f64 v[88:89], v[24:25], 2.0, -v[52:53]
	v_add_f64 v[16:17], v[0:1], -v[72:73]
	v_mul_f64 v[92:93], v[68:69], s[14:15]
	v_mul_f64 v[94:95], v[70:71], s[14:15]
	;; [unrolled: 1-line block ×4, first 2 shown]
	v_fma_f64 v[30:31], s[14:15], v[30:31], v[66:67]
	s_mov_b32 s15, 0x3fed906b
	s_mov_b32 s14, s8
	v_fma_f64 v[86:87], v[86:87], 2.0, -v[48:49]
	v_fma_f64 v[90:91], v[26:27], 2.0, -v[76:77]
	;; [unrolled: 1-line block ×3, first 2 shown]
	v_fma_f64 v[24:25], s[8:9], v[84:85], v[20:21]
	v_fma_f64 v[26:27], s[18:19], v[68:69], v[22:23]
	v_fma_f64 v[68:69], s[2:3], v[88:89], v[28:29]
	v_fma_f64 v[72:73], s[12:13], v[40:41], v[32:33]
	v_fma_f64 v[0:1], s[14:15], v[52:53], v[14:15]
	v_fmac_f64_e32 v[24:25], s[2:3], v[86:87]
	v_fmac_f64_e32 v[26:27], s[18:19], v[70:71]
	;; [unrolled: 1-line block ×3, first 2 shown]
	v_add_f64 v[70:71], v[64:65], -v[82:83]
	v_fmac_f64_e32 v[72:73], s[8:9], v[48:49]
	v_fmac_f64_e32 v[30:31], s[18:19], v[122:123]
	;; [unrolled: 1-line block ×3, first 2 shown]
	v_fma_f64 v[20:21], v[20:21], 2.0, -v[24:25]
	v_fma_f64 v[22:23], v[22:23], 2.0, -v[26:27]
	;; [unrolled: 1-line block ×7, first 2 shown]
	ds_write2_b64 v119, v[18:19], v[20:21] offset1:18
	ds_write2_b64 v119, v[22:23], v[28:29] offset0:36 offset1:54
	ds_write2_b64 v119, v[64:65], v[32:33] offset0:72 offset1:90
	ds_write2_b64 v119, v[66:67], v[14:15] offset0:108 offset1:126
	ds_write2_b64 v119, v[16:17], v[24:25] offset0:144 offset1:162
	ds_write2_b64 v119, v[26:27], v[68:69] offset0:180 offset1:198
	ds_write2_b64 v119, v[70:71], v[72:73] offset0:216 offset1:234
	ds_write2_b64 v120, v[30:31], v[0:1] offset0:124 offset1:142
	s_waitcnt lgkmcnt(0)
	; wave barrier
	s_waitcnt lgkmcnt(0)
	ds_read_b64 v[64:65], v112
	ds_read2_b64 v[18:21], v116 offset0:32 offset1:86
	ds_read2_b64 v[14:17], v121 offset0:120 offset1:192
	ds_read_b64 v[66:67], v113
	ds_read2_b64 v[22:25], v118 offset0:118 offset1:172
	ds_read_b64 v[68:69], v105
	;; [unrolled: 2-line block ×4, first 2 shown]
	s_and_saveexec_b64 s[18:19], s[0:1]
	s_cbranch_execz .LBB0_29
; %bb.28:
	ds_read_b64 v[54:55], v112 offset:4464
	ds_read_b64 v[0:1], v104 offset:2160
	;; [unrolled: 1-line block ×3, first 2 shown]
.LBB0_29:
	s_or_b64 exec, exec, s[18:19]
	v_mul_f64 v[2:3], v[2:3], v[12:13]
	v_fmac_f64_e32 v[2:3], v[6:7], v[10:11]
	v_add_f64 v[2:3], v[42:43], -v[2:3]
	v_add_f64 v[12:13], v[2:3], v[34:35]
	v_fma_f64 v[6:7], v[42:43], 2.0, -v[2:3]
	v_fma_f64 v[2:3], v[2:3], 2.0, -v[12:13]
	;; [unrolled: 1-line block ×3, first 2 shown]
	v_add_f64 v[36:37], v[2:3], -v[74:75]
	v_add_f64 v[36:37], v[50:51], v[36:37]
	v_add_f64 v[10:11], v[6:7], -v[10:11]
	v_fma_f64 v[2:3], v[2:3], 2.0, -v[36:37]
	v_fma_f64 v[34:35], v[62:63], 2.0, -v[38:39]
	v_add_f64 v[4:5], v[10:11], v[4:5]
	v_add_f64 v[38:39], v[12:13], v[80:81]
	v_fma_f64 v[42:43], s[8:9], v[86:87], v[2:3]
	v_fma_f64 v[6:7], v[6:7], 2.0, -v[10:11]
	v_fma_f64 v[10:11], v[10:11], 2.0, -v[4:5]
	v_add_f64 v[38:39], v[78:79], v[38:39]
	v_fmac_f64_e32 v[42:43], s[12:13], v[84:85]
	v_add_f64 v[34:35], v[6:7], -v[34:35]
	v_fma_f64 v[12:13], v[12:13], 2.0, -v[38:39]
	v_fma_f64 v[44:45], v[2:3], 2.0, -v[42:43]
	v_add_f64 v[2:3], v[10:11], -v[94:95]
	v_fma_f64 v[6:7], v[6:7], 2.0, -v[34:35]
	v_fma_f64 v[8:9], v[8:9], 2.0, -v[82:83]
	v_add_f64 v[50:51], v[92:93], v[2:3]
	v_fma_f64 v[62:63], s[2:3], v[90:91], v[12:13]
	v_fma_f64 v[48:49], s[12:13], v[48:49], v[36:37]
	v_add_f64 v[2:3], v[4:5], v[102:103]
	v_add_f64 v[8:9], v[6:7], -v[8:9]
	v_fmac_f64_e32 v[62:63], s[14:15], v[88:89]
	v_fmac_f64_e32 v[48:49], s[14:15], v[40:41]
	v_add_f64 v[40:41], v[100:101], v[2:3]
	v_fma_f64 v[2:3], s[14:15], v[76:77], v[38:39]
	v_fma_f64 v[6:7], v[6:7], 2.0, -v[8:9]
	v_fma_f64 v[12:13], v[12:13], 2.0, -v[62:63]
	v_add_f64 v[46:47], v[34:35], v[46:47]
	v_fmac_f64_e32 v[2:3], s[12:13], v[52:53]
	v_fma_f64 v[10:11], v[10:11], 2.0, -v[50:51]
	v_fma_f64 v[34:35], v[34:35], 2.0, -v[46:47]
	;; [unrolled: 1-line block ×5, first 2 shown]
	s_waitcnt lgkmcnt(0)
	; wave barrier
	s_waitcnt lgkmcnt(0)
	ds_write2_b64 v119, v[6:7], v[44:45] offset1:18
	ds_write2_b64 v119, v[10:11], v[12:13] offset0:36 offset1:54
	ds_write2_b64 v119, v[34:35], v[36:37] offset0:72 offset1:90
	ds_write2_b64 v119, v[4:5], v[38:39] offset0:108 offset1:126
	ds_write2_b64 v119, v[8:9], v[42:43] offset0:144 offset1:162
	ds_write2_b64 v119, v[50:51], v[62:63] offset0:180 offset1:198
	ds_write2_b64 v119, v[46:47], v[48:49] offset0:216 offset1:234
	ds_write2_b64 v120, v[40:41], v[2:3] offset0:124 offset1:142
	v_add_u32_e32 v12, 0x800, v112
	v_add_u32_e32 v13, 0x1000, v112
	s_waitcnt lgkmcnt(0)
	; wave barrier
	s_waitcnt lgkmcnt(0)
	ds_read2_b64 v[8:11], v12 offset0:32 offset1:86
	ds_read2_b64 v[4:7], v121 offset0:120 offset1:192
	ds_read_b64 v[76:77], v113
	ds_read2_b64 v[34:37], v13 offset0:118 offset1:172
	ds_read2_b64 v[38:41], v12 offset0:140 offset1:194
	v_add_u32_e32 v12, 0x1400, v112
	ds_read2_b64 v[42:45], v12 offset0:98 offset1:152
	ds_read_b64 v[74:75], v112
	ds_read_b64 v[78:79], v105
	ds_read_b64 v[80:81], v114
	ds_read_b64 v[12:13], v115
	s_and_saveexec_b64 s[2:3], s[0:1]
	s_cbranch_execz .LBB0_31
; %bb.30:
	ds_read_b64 v[58:59], v112 offset:4464
	ds_read_b64 v[2:3], v104 offset:2160
	ds_read_b64 v[60:61], v112 offset:6768
.LBB0_31:
	s_or_b64 exec, exec, s[2:3]
	s_and_saveexec_b64 s[2:3], vcc
	s_cbranch_execz .LBB0_34
; %bb.32:
	v_lshlrev_b32_e32 v62, 1, v110
	v_mov_b32_e32 v63, 0
	v_lshl_add_u64 v[46:47], v[62:63], 4, s[4:5]
	s_mov_b64 s[2:3], 0x11d0
	v_add_co_u32_e32 v84, vcc, 0x1000, v46
	v_lshl_add_u64 v[82:83], v[46:47], 0, s[2:3]
	s_nop 0
	v_addc_co_u32_e32 v85, vcc, 0, v47, vcc
	v_lshlrev_b32_e32 v62, 1, v109
	s_movk_i32 s12, 0x1000
	global_load_dwordx4 v[46:49], v[84:85], off offset:464
	global_load_dwordx4 v[50:53], v[82:83], off offset:16
	v_lshl_add_u64 v[82:83], v[62:63], 4, s[4:5]
	v_lshl_add_u64 v[92:93], v[82:83], 0, s[2:3]
	v_add_co_u32_e32 v82, vcc, s12, v82
	v_lshlrev_b32_e32 v62, 1, v108
	s_nop 0
	v_addc_co_u32_e32 v83, vcc, 0, v83, vcc
	global_load_dwordx4 v[84:87], v[82:83], off offset:464
	global_load_dwordx4 v[88:91], v[92:93], off offset:16
	v_lshl_add_u64 v[82:83], v[62:63], 4, s[4:5]
	v_add_co_u32_e32 v92, vcc, s12, v82
	v_lshlrev_b32_e32 v62, 1, v107
	s_nop 0
	v_addc_co_u32_e32 v93, vcc, 0, v83, vcc
	v_lshl_add_u64 v[82:83], v[82:83], 0, s[2:3]
	global_load_dwordx4 v[92:95], v[92:93], off offset:464
	v_mul_lo_u32 v108, s7, v98
	global_load_dwordx4 v[100:103], v[82:83], off offset:16
	v_mul_lo_u32 v109, s6, v99
	v_mad_u64_u32 v[82:83], s[6:7], s6, v98, 0
	v_lshl_add_u64 v[98:99], v[62:63], 4, s[4:5]
	v_add_co_u32_e32 v104, vcc, s12, v98
	v_lshlrev_b32_e32 v62, 1, v106
	s_nop 0
	v_addc_co_u32_e32 v105, vcc, 0, v99, vcc
	global_load_dwordx4 v[112:115], v[104:105], off offset:464
	v_lshl_add_u64 v[98:99], v[98:99], 0, s[2:3]
	global_load_dwordx4 v[116:119], v[98:99], off offset:16
	v_lshl_add_u64 v[98:99], v[62:63], 4, s[4:5]
	v_lshl_add_u64 v[104:105], v[98:99], 0, s[2:3]
	v_add_co_u32_e32 v98, vcc, s12, v98
	v_add3_u32 v83, v83, v109, v108
	s_nop 0
	v_addc_co_u32_e32 v99, vcc, 0, v99, vcc
	global_load_dwordx4 v[120:123], v[98:99], off offset:464
	global_load_dwordx4 v[124:127], v[104:105], off offset:16
	s_mov_b32 s6, 0xe8584caa
	s_mov_b32 s7, 0x3febb67a
	;; [unrolled: 1-line block ×5, first 2 shown]
	s_movk_i32 s12, 0x120
	s_waitcnt vmcnt(9) lgkmcnt(8)
	v_mul_f64 v[98:99], v[4:5], v[48:49]
	s_waitcnt vmcnt(8) lgkmcnt(4)
	v_mul_f64 v[104:105], v[44:45], v[52:53]
	v_mul_f64 v[48:49], v[14:15], v[48:49]
	;; [unrolled: 1-line block ×3, first 2 shown]
	v_fma_f64 v[14:15], v[14:15], v[46:47], -v[98:99]
	v_fma_f64 v[32:33], v[32:33], v[50:51], -v[104:105]
	v_fmac_f64_e32 v[48:49], v[4:5], v[46:47]
	v_fmac_f64_e32 v[52:53], v[44:45], v[50:51]
	s_waitcnt vmcnt(7)
	v_mul_f64 v[108:109], v[40:41], v[86:87]
	s_waitcnt vmcnt(6)
	v_mul_f64 v[128:129], v[42:43], v[90:91]
	v_mul_f64 v[86:87], v[28:29], v[86:87]
	;; [unrolled: 1-line block ×3, first 2 shown]
	v_fmac_f64_e32 v[86:87], v[40:41], v[84:85]
	v_add_f64 v[40:41], v[14:15], -v[32:33]
	s_waitcnt lgkmcnt(0)
	v_add_f64 v[44:45], v[12:13], v[48:49]
	v_add_f64 v[50:51], v[14:15], v[32:33]
	;; [unrolled: 1-line block ×3, first 2 shown]
	v_fmac_f64_e32 v[90:91], v[42:43], v[88:89]
	v_fma_f64 v[4:5], v[28:29], v[84:85], -v[108:109]
	v_add_f64 v[28:29], v[48:49], v[52:53]
	v_add_f64 v[46:47], v[44:45], v[52:53]
	;; [unrolled: 1-line block ×4, first 2 shown]
	v_fma_f64 v[98:99], v[30:31], v[88:89], -v[128:129]
	v_fma_f64 v[30:31], -0.5, v[28:29], v[12:13]
	v_fma_f64 v[28:29], -0.5, v[50:51], v[72:73]
	v_fma_f64 v[50:51], -0.5, v[32:33], v[80:81]
	v_add_f64 v[32:33], v[80:81], v[86:87]
	v_add_f64 v[48:49], v[48:49], -v[52:53]
	v_add_f64 v[84:85], v[4:5], -v[98:99]
	v_add_f64 v[72:73], v[32:33], v[90:91]
	v_add_f64 v[32:33], v[4:5], v[98:99]
	v_fma_f64 v[12:13], s[8:9], v[48:49], v[28:29]
	v_fmac_f64_e32 v[28:29], s[6:7], v[48:49]
	v_fma_f64 v[42:43], s[6:7], v[84:85], v[50:51]
	v_fmac_f64_e32 v[50:51], s[8:9], v[84:85]
	v_fma_f64 v[48:49], -0.5, v[32:33], v[70:71]
	v_add_f64 v[32:33], v[86:87], -v[90:91]
	v_add_f64 v[4:5], v[70:71], v[4:5]
	s_waitcnt vmcnt(5)
	v_mul_f64 v[84:85], v[26:27], v[94:95]
	s_waitcnt vmcnt(4)
	v_mul_f64 v[86:87], v[24:25], v[102:103]
	v_fma_f64 v[14:15], s[6:7], v[40:41], v[30:31]
	v_fmac_f64_e32 v[30:31], s[8:9], v[40:41]
	v_fma_f64 v[40:41], s[8:9], v[32:33], v[48:49]
	v_fmac_f64_e32 v[48:49], s[6:7], v[32:33]
	v_add_f64 v[70:71], v[4:5], v[98:99]
	v_mul_f64 v[4:5], v[38:39], v[94:95]
	v_mul_f64 v[32:33], v[36:37], v[102:103]
	v_fmac_f64_e32 v[84:85], v[38:39], v[92:93]
	v_fmac_f64_e32 v[86:87], v[36:37], v[100:101]
	v_fma_f64 v[4:5], v[26:27], v[92:93], -v[4:5]
	v_fma_f64 v[32:33], v[24:25], v[100:101], -v[32:33]
	v_add_f64 v[24:25], v[84:85], v[86:87]
	v_add_f64 v[52:53], v[4:5], -v[32:33]
	v_fma_f64 v[26:27], -0.5, v[24:25], v[78:79]
	v_add_f64 v[24:25], v[78:79], v[84:85]
	v_fma_f64 v[38:39], s[6:7], v[52:53], v[26:27]
	v_fmac_f64_e32 v[26:27], s[8:9], v[52:53]
	v_add_f64 v[80:81], v[24:25], v[86:87]
	v_add_f64 v[24:25], v[4:5], v[32:33]
	v_add_f64 v[52:53], v[84:85], -v[86:87]
	v_add_f64 v[4:5], v[68:69], v[4:5]
	s_waitcnt vmcnt(3)
	v_mul_f64 v[84:85], v[20:21], v[114:115]
	v_add_f64 v[78:79], v[4:5], v[32:33]
	v_mul_f64 v[4:5], v[10:11], v[114:115]
	v_fmac_f64_e32 v[84:85], v[10:11], v[112:113]
	s_waitcnt vmcnt(2)
	v_mul_f64 v[10:11], v[22:23], v[118:119]
	v_fmac_f64_e32 v[10:11], v[34:35], v[116:117]
	v_fma_f64 v[24:25], -0.5, v[24:25], v[68:69]
	v_fma_f64 v[4:5], v[20:21], v[112:113], -v[4:5]
	v_mul_f64 v[32:33], v[34:35], v[118:119]
	v_add_f64 v[20:21], v[84:85], v[10:11]
	v_fma_f64 v[36:37], s[8:9], v[52:53], v[24:25]
	v_fmac_f64_e32 v[24:25], s[6:7], v[52:53]
	v_fma_f64 v[52:53], v[22:23], v[116:117], -v[32:33]
	v_fma_f64 v[22:23], -0.5, v[20:21], v[76:77]
	v_add_f64 v[20:21], v[76:77], v[84:85]
	v_add_f64 v[68:69], v[20:21], v[10:11]
	;; [unrolled: 1-line block ×3, first 2 shown]
	v_add_f64 v[32:33], v[4:5], -v[52:53]
	v_fma_f64 v[20:21], -0.5, v[20:21], v[66:67]
	v_add_f64 v[10:11], v[84:85], -v[10:11]
	v_fma_f64 v[34:35], s[6:7], v[32:33], v[22:23]
	v_fmac_f64_e32 v[22:23], s[8:9], v[32:33]
	v_fma_f64 v[32:33], s[8:9], v[10:11], v[20:21]
	v_fmac_f64_e32 v[20:21], s[6:7], v[10:11]
	s_waitcnt vmcnt(0)
	v_mul_f64 v[10:11], v[6:7], v[126:127]
	v_fma_f64 v[10:11], v[16:17], v[124:125], -v[10:11]
	v_mul_f64 v[84:85], v[18:19], v[122:123]
	v_mul_f64 v[16:17], v[16:17], v[126:127]
	v_add_f64 v[4:5], v[66:67], v[4:5]
	v_fmac_f64_e32 v[84:85], v[8:9], v[120:121]
	v_fmac_f64_e32 v[16:17], v[6:7], v[124:125]
	v_add_f64 v[66:67], v[4:5], v[52:53]
	v_mul_f64 v[4:5], v[8:9], v[122:123]
	v_add_f64 v[6:7], v[84:85], v[16:17]
	v_fma_f64 v[4:5], v[18:19], v[120:121], -v[4:5]
	v_fma_f64 v[8:9], -0.5, v[6:7], v[74:75]
	v_add_f64 v[6:7], v[74:75], v[84:85]
	v_add_f64 v[52:53], v[4:5], -v[10:11]
	v_add_f64 v[76:77], v[6:7], v[16:17]
	v_add_f64 v[6:7], v[4:5], v[10:11]
	;; [unrolled: 1-line block ×4, first 2 shown]
	v_mul_hi_u32 v4, v106, s13
	v_lshrrev_b32_e32 v4, 6, v4
	v_mul_u32_u24_e32 v4, 0x120, v4
	v_sub_u32_e32 v62, v106, v4
	v_mad_u64_u32 v[10:11], s[14:15], s16, v62, 0
	v_mov_b32_e32 v4, v11
	v_mad_u64_u32 v[4:5], s[14:15], s17, v62, v[4:5]
	v_mov_b32_e32 v11, v4
	v_lshl_add_u64 v[4:5], v[82:83], 4, s[10:11]
	v_fma_f64 v[18:19], s[6:7], v[52:53], v[8:9]
	v_fmac_f64_e32 v[8:9], s[8:9], v[52:53]
	v_fma_f64 v[6:7], -0.5, v[6:7], v[64:65]
	v_add_f64 v[52:53], v[84:85], -v[16:17]
	v_lshl_add_u64 v[4:5], v[96:97], 4, v[4:5]
	v_fma_f64 v[16:17], s[8:9], v[52:53], v[6:7]
	v_fmac_f64_e32 v[6:7], s[6:7], v[52:53]
	v_lshl_add_u64 v[10:11], v[10:11], 4, v[4:5]
	v_add_u32_e32 v53, 0x120, v62
	global_store_dwordx4 v[10:11], v[74:77], off
	v_mad_u64_u32 v[10:11], s[10:11], s16, v53, 0
	v_mov_b32_e32 v52, v11
	v_mad_u64_u32 v[52:53], s[10:11], s17, v53, v[52:53]
	v_mov_b32_e32 v11, v52
	v_lshl_add_u64 v[10:11], v[10:11], 4, v[4:5]
	global_store_dwordx4 v[10:11], v[6:9], off
	s_movk_i32 s14, 0x360
	s_nop 0
	v_add_u32_e32 v9, 0x240, v62
	v_mad_u64_u32 v[6:7], s[10:11], s16, v9, 0
	v_mov_b32_e32 v8, v7
	v_mad_u64_u32 v[8:9], s[10:11], s17, v9, v[8:9]
	v_mov_b32_e32 v7, v8
	v_lshl_add_u64 v[6:7], v[6:7], 4, v[4:5]
	global_store_dwordx4 v[6:7], v[16:19], off
	v_add_u32_e32 v6, 54, v106
	v_mul_hi_u32 v7, v6, s13
	v_lshrrev_b32_e32 v7, 6, v7
	v_mul_u32_u24_e32 v8, 0x120, v7
	v_sub_u32_e32 v6, v6, v8
	v_mad_u32_u24 v10, v7, s14, v6
	v_mad_u64_u32 v[6:7], s[10:11], s16, v10, 0
	v_mov_b32_e32 v8, v7
	v_mad_u64_u32 v[8:9], s[10:11], s17, v10, v[8:9]
	v_mov_b32_e32 v7, v8
	v_lshl_add_u64 v[6:7], v[6:7], 4, v[4:5]
	v_add_u32_e32 v9, 0x120, v10
	global_store_dwordx4 v[6:7], v[66:69], off
	v_mad_u64_u32 v[6:7], s[10:11], s16, v9, 0
	v_mov_b32_e32 v8, v7
	v_mad_u64_u32 v[8:9], s[10:11], s17, v9, v[8:9]
	v_mov_b32_e32 v7, v8
	v_lshl_add_u64 v[6:7], v[6:7], 4, v[4:5]
	v_add_u32_e32 v9, 0x240, v10
	global_store_dwordx4 v[6:7], v[20:23], off
	v_mad_u64_u32 v[6:7], s[10:11], s16, v9, 0
	v_mov_b32_e32 v8, v7
	v_mad_u64_u32 v[8:9], s[10:11], s17, v9, v[8:9]
	v_mov_b32_e32 v7, v8
	v_lshl_add_u64 v[6:7], v[6:7], 4, v[4:5]
	global_store_dwordx4 v[6:7], v[32:35], off
	v_add_u32_e32 v6, 0x6c, v106
	v_mul_hi_u32 v7, v6, s13
	v_lshrrev_b32_e32 v7, 6, v7
	v_mul_u32_u24_e32 v8, 0x120, v7
	v_sub_u32_e32 v6, v6, v8
	v_mad_u32_u24 v10, v7, s14, v6
	v_mad_u64_u32 v[6:7], s[10:11], s16, v10, 0
	v_mov_b32_e32 v8, v7
	v_mad_u64_u32 v[8:9], s[10:11], s17, v10, v[8:9]
	v_mov_b32_e32 v7, v8
	v_lshl_add_u64 v[6:7], v[6:7], 4, v[4:5]
	v_add_u32_e32 v9, 0x120, v10
	global_store_dwordx4 v[6:7], v[78:81], off
	v_mad_u64_u32 v[6:7], s[10:11], s16, v9, 0
	v_mov_b32_e32 v8, v7
	v_mad_u64_u32 v[8:9], s[10:11], s17, v9, v[8:9]
	v_mov_b32_e32 v7, v8
	v_lshl_add_u64 v[6:7], v[6:7], 4, v[4:5]
	v_add_u32_e32 v9, 0x240, v10
	global_store_dwordx4 v[6:7], v[24:27], off
	;; [unrolled: 26-line block ×4, first 2 shown]
	v_mad_u64_u32 v[6:7], s[10:11], s16, v9, 0
	v_mov_b32_e32 v8, v7
	v_mad_u64_u32 v[8:9], s[10:11], s17, v9, v[8:9]
	v_mov_b32_e32 v7, v8
	v_lshl_add_u64 v[6:7], v[6:7], 4, v[4:5]
	global_store_dwordx4 v[6:7], v[12:15], off
	v_add_u32_e32 v6, 0x10e, v106
	v_cmp_gt_u32_e32 vcc, s12, v6
	s_and_b64 exec, exec, vcc
	s_cbranch_execz .LBB0_34
; %bb.33:
	v_subrev_u32_e32 v7, 18, v106
	v_cndmask_b32_e64 v7, v7, v111, s[0:1]
	v_lshlrev_b32_e32 v62, 1, v7
	v_lshl_add_u64 v[12:13], v[62:63], 4, s[4:5]
	v_add_co_u32_e32 v8, vcc, 0x1000, v12
	v_mad_u64_u32 v[16:17], s[0:1], s16, v6, 0
	s_nop 0
	v_addc_co_u32_e32 v9, vcc, 0, v13, vcc
	v_lshl_add_u64 v[12:13], v[12:13], 0, s[2:3]
	global_load_dwordx4 v[8:11], v[8:9], off offset:464
	v_add_u32_e32 v19, 0x22e, v106
	global_load_dwordx4 v[12:15], v[12:13], off offset:16
	v_add_u32_e32 v25, 0x34e, v106
	v_mov_b32_e32 v18, v17
	v_mad_u64_u32 v[20:21], s[0:1], s16, v19, 0
	v_mad_u64_u32 v[22:23], s[0:1], s16, v25, 0
	;; [unrolled: 1-line block ×3, first 2 shown]
	v_mov_b32_e32 v18, v21
	v_mov_b32_e32 v24, v23
	;; [unrolled: 1-line block ×3, first 2 shown]
	v_mad_u64_u32 v[6:7], s[0:1], s17, v19, v[18:19]
	v_mad_u64_u32 v[18:19], s[0:1], s17, v25, v[24:25]
	v_mov_b32_e32 v21, v6
	v_mov_b32_e32 v23, v18
	v_lshl_add_u64 v[16:17], v[16:17], 4, v[4:5]
	v_lshl_add_u64 v[18:19], v[20:21], 4, v[4:5]
	;; [unrolled: 1-line block ×3, first 2 shown]
	s_waitcnt vmcnt(1)
	v_mul_f64 v[4:5], v[58:59], v[10:11]
	v_mul_f64 v[6:7], v[54:55], v[10:11]
	s_waitcnt vmcnt(0)
	v_mul_f64 v[10:11], v[60:61], v[14:15]
	v_mul_f64 v[14:15], v[56:57], v[14:15]
	v_fma_f64 v[4:5], v[54:55], v[8:9], -v[4:5]
	v_fmac_f64_e32 v[6:7], v[58:59], v[8:9]
	v_fma_f64 v[8:9], v[56:57], v[12:13], -v[10:11]
	v_fmac_f64_e32 v[14:15], v[60:61], v[12:13]
	v_add_f64 v[10:11], v[0:1], v[4:5]
	v_add_f64 v[12:13], v[4:5], v[8:9]
	;; [unrolled: 1-line block ×4, first 2 shown]
	v_add_f64 v[22:23], v[6:7], -v[14:15]
	v_add_f64 v[28:29], v[4:5], -v[8:9]
	v_add_f64 v[4:5], v[10:11], v[8:9]
	v_fmac_f64_e32 v[0:1], -0.5, v[12:13]
	v_add_f64 v[6:7], v[24:25], v[14:15]
	v_fmac_f64_e32 v[2:3], -0.5, v[26:27]
	v_fma_f64 v[8:9], s[6:7], v[22:23], v[0:1]
	v_fmac_f64_e32 v[0:1], s[8:9], v[22:23]
	v_fma_f64 v[10:11], s[8:9], v[28:29], v[2:3]
	v_fmac_f64_e32 v[2:3], s[6:7], v[28:29]
	global_store_dwordx4 v[16:17], v[4:7], off
	global_store_dwordx4 v[18:19], v[8:11], off
	;; [unrolled: 1-line block ×3, first 2 shown]
.LBB0_34:
	s_endpgm
	.section	.rodata,"a",@progbits
	.p2align	6, 0x0
	.amdhsa_kernel fft_rtc_fwd_len864_factors_3_6_16_3_wgs_54_tpt_54_halfLds_dp_op_CI_CI_sbrr_dirReg
		.amdhsa_group_segment_fixed_size 0
		.amdhsa_private_segment_fixed_size 0
		.amdhsa_kernarg_size 104
		.amdhsa_user_sgpr_count 2
		.amdhsa_user_sgpr_dispatch_ptr 0
		.amdhsa_user_sgpr_queue_ptr 0
		.amdhsa_user_sgpr_kernarg_segment_ptr 1
		.amdhsa_user_sgpr_dispatch_id 0
		.amdhsa_user_sgpr_kernarg_preload_length 0
		.amdhsa_user_sgpr_kernarg_preload_offset 0
		.amdhsa_user_sgpr_private_segment_size 0
		.amdhsa_uses_dynamic_stack 0
		.amdhsa_enable_private_segment 0
		.amdhsa_system_sgpr_workgroup_id_x 1
		.amdhsa_system_sgpr_workgroup_id_y 0
		.amdhsa_system_sgpr_workgroup_id_z 0
		.amdhsa_system_sgpr_workgroup_info 0
		.amdhsa_system_vgpr_workitem_id 0
		.amdhsa_next_free_vgpr 166
		.amdhsa_next_free_sgpr 32
		.amdhsa_accum_offset 168
		.amdhsa_reserve_vcc 1
		.amdhsa_float_round_mode_32 0
		.amdhsa_float_round_mode_16_64 0
		.amdhsa_float_denorm_mode_32 3
		.amdhsa_float_denorm_mode_16_64 3
		.amdhsa_dx10_clamp 1
		.amdhsa_ieee_mode 1
		.amdhsa_fp16_overflow 0
		.amdhsa_tg_split 0
		.amdhsa_exception_fp_ieee_invalid_op 0
		.amdhsa_exception_fp_denorm_src 0
		.amdhsa_exception_fp_ieee_div_zero 0
		.amdhsa_exception_fp_ieee_overflow 0
		.amdhsa_exception_fp_ieee_underflow 0
		.amdhsa_exception_fp_ieee_inexact 0
		.amdhsa_exception_int_div_zero 0
	.end_amdhsa_kernel
	.text
.Lfunc_end0:
	.size	fft_rtc_fwd_len864_factors_3_6_16_3_wgs_54_tpt_54_halfLds_dp_op_CI_CI_sbrr_dirReg, .Lfunc_end0-fft_rtc_fwd_len864_factors_3_6_16_3_wgs_54_tpt_54_halfLds_dp_op_CI_CI_sbrr_dirReg
                                        ; -- End function
	.section	.AMDGPU.csdata,"",@progbits
; Kernel info:
; codeLenInByte = 10628
; NumSgprs: 38
; NumVgprs: 166
; NumAgprs: 0
; TotalNumVgprs: 166
; ScratchSize: 0
; MemoryBound: 1
; FloatMode: 240
; IeeeMode: 1
; LDSByteSize: 0 bytes/workgroup (compile time only)
; SGPRBlocks: 4
; VGPRBlocks: 20
; NumSGPRsForWavesPerEU: 38
; NumVGPRsForWavesPerEU: 166
; AccumOffset: 168
; Occupancy: 3
; WaveLimiterHint : 1
; COMPUTE_PGM_RSRC2:SCRATCH_EN: 0
; COMPUTE_PGM_RSRC2:USER_SGPR: 2
; COMPUTE_PGM_RSRC2:TRAP_HANDLER: 0
; COMPUTE_PGM_RSRC2:TGID_X_EN: 1
; COMPUTE_PGM_RSRC2:TGID_Y_EN: 0
; COMPUTE_PGM_RSRC2:TGID_Z_EN: 0
; COMPUTE_PGM_RSRC2:TIDIG_COMP_CNT: 0
; COMPUTE_PGM_RSRC3_GFX90A:ACCUM_OFFSET: 41
; COMPUTE_PGM_RSRC3_GFX90A:TG_SPLIT: 0
	.text
	.p2alignl 6, 3212836864
	.fill 256, 4, 3212836864
	.type	__hip_cuid_4820dc64c12ebfa8,@object ; @__hip_cuid_4820dc64c12ebfa8
	.section	.bss,"aw",@nobits
	.globl	__hip_cuid_4820dc64c12ebfa8
__hip_cuid_4820dc64c12ebfa8:
	.byte	0                               ; 0x0
	.size	__hip_cuid_4820dc64c12ebfa8, 1

	.ident	"AMD clang version 19.0.0git (https://github.com/RadeonOpenCompute/llvm-project roc-6.4.0 25133 c7fe45cf4b819c5991fe208aaa96edf142730f1d)"
	.section	".note.GNU-stack","",@progbits
	.addrsig
	.addrsig_sym __hip_cuid_4820dc64c12ebfa8
	.amdgpu_metadata
---
amdhsa.kernels:
  - .agpr_count:     0
    .args:
      - .actual_access:  read_only
        .address_space:  global
        .offset:         0
        .size:           8
        .value_kind:     global_buffer
      - .offset:         8
        .size:           8
        .value_kind:     by_value
      - .actual_access:  read_only
        .address_space:  global
        .offset:         16
        .size:           8
        .value_kind:     global_buffer
      - .actual_access:  read_only
        .address_space:  global
        .offset:         24
        .size:           8
        .value_kind:     global_buffer
      - .actual_access:  read_only
        .address_space:  global
        .offset:         32
        .size:           8
        .value_kind:     global_buffer
      - .offset:         40
        .size:           8
        .value_kind:     by_value
      - .actual_access:  read_only
        .address_space:  global
        .offset:         48
        .size:           8
        .value_kind:     global_buffer
      - .actual_access:  read_only
        .address_space:  global
        .offset:         56
        .size:           8
        .value_kind:     global_buffer
      - .offset:         64
        .size:           4
        .value_kind:     by_value
      - .actual_access:  read_only
        .address_space:  global
        .offset:         72
        .size:           8
        .value_kind:     global_buffer
      - .actual_access:  read_only
        .address_space:  global
        .offset:         80
        .size:           8
        .value_kind:     global_buffer
      - .actual_access:  read_only
        .address_space:  global
        .offset:         88
        .size:           8
        .value_kind:     global_buffer
      - .actual_access:  write_only
        .address_space:  global
        .offset:         96
        .size:           8
        .value_kind:     global_buffer
    .group_segment_fixed_size: 0
    .kernarg_segment_align: 8
    .kernarg_segment_size: 104
    .language:       OpenCL C
    .language_version:
      - 2
      - 0
    .max_flat_workgroup_size: 54
    .name:           fft_rtc_fwd_len864_factors_3_6_16_3_wgs_54_tpt_54_halfLds_dp_op_CI_CI_sbrr_dirReg
    .private_segment_fixed_size: 0
    .sgpr_count:     38
    .sgpr_spill_count: 0
    .symbol:         fft_rtc_fwd_len864_factors_3_6_16_3_wgs_54_tpt_54_halfLds_dp_op_CI_CI_sbrr_dirReg.kd
    .uniform_work_group_size: 1
    .uses_dynamic_stack: false
    .vgpr_count:     166
    .vgpr_spill_count: 0
    .wavefront_size: 64
amdhsa.target:   amdgcn-amd-amdhsa--gfx950
amdhsa.version:
  - 1
  - 2
...

	.end_amdgpu_metadata
